;; amdgpu-corpus repo=ROCm/rocBLAS kind=compiled arch=gfx950 opt=O3
	.amdgcn_target "amdgcn-amd-amdhsa--gfx950"
	.amdhsa_code_object_version 6
	.section	.text._ZL18rocblas_trtri_fillILi128EfPfEvP15_rocblas_handle13rocblas_fill_ililT1_llii,"axG",@progbits,_ZL18rocblas_trtri_fillILi128EfPfEvP15_rocblas_handle13rocblas_fill_ililT1_llii,comdat
	.globl	_ZL18rocblas_trtri_fillILi128EfPfEvP15_rocblas_handle13rocblas_fill_ililT1_llii ; -- Begin function _ZL18rocblas_trtri_fillILi128EfPfEvP15_rocblas_handle13rocblas_fill_ililT1_llii
	.p2align	8
	.type	_ZL18rocblas_trtri_fillILi128EfPfEvP15_rocblas_handle13rocblas_fill_ililT1_llii,@function
_ZL18rocblas_trtri_fillILi128EfPfEvP15_rocblas_handle13rocblas_fill_ililT1_llii: ; @_ZL18rocblas_trtri_fillILi128EfPfEvP15_rocblas_handle13rocblas_fill_ililT1_llii
; %bb.0:
	s_mov_b32 s4, s2
	s_load_dword s2, s[0:1], 0x40
	s_load_dwordx2 s[12:13], s[0:1], 0x10
	s_waitcnt lgkmcnt(0)
	s_ashr_i32 s5, s2, 31
	s_mul_hi_u32 s6, s12, s2
	s_mul_i32 s5, s12, s5
	s_add_i32 s5, s6, s5
	s_mul_i32 s6, s13, s2
	s_add_i32 s15, s5, s6
	s_mov_b32 s5, 0
	s_lshl_b64 s[4:5], s[4:5], 7
	s_mul_i32 s14, s12, s2
	v_or_b32_e32 v0, s4, v0
	v_mov_b32_e32 v1, s5
	v_cmp_gt_u64_e32 vcc, s[14:15], v[0:1]
	s_and_saveexec_b64 s[4:5], vcc
	s_cbranch_execz .LBB0_14
; %bb.1:
	v_cvt_f32_u32_e32 v5, s12
	v_cvt_f32_u32_e32 v6, s13
	s_load_dword s16, s[0:1], 0x18
	s_load_dwordx8 s[4:11], s[0:1], 0x20
	s_load_dwordx2 s[18:19], s[0:1], 0x8
	s_mov_b32 s20, 0
	v_mov_b32_e32 v4, 0
	v_fmac_f32_e32 v5, 0x4f800000, v6
	s_waitcnt lgkmcnt(0)
	s_mul_i32 s2, s11, s3
	s_mul_hi_u32 s11, s10, s3
	v_rcp_f32_e32 v5, v5
	v_cvt_f32_u32_e32 v6, s12
	s_add_i32 s11, s11, s2
	s_mul_i32 s10, s10, s3
	s_ashr_i32 s17, s16, 31
	s_lshl_b64 s[2:3], s[10:11], 2
	s_add_u32 s6, s6, s2
	s_addc_u32 s7, s7, s3
	s_lshl_b64 s[2:3], s[8:9], 2
	v_mul_f32_e32 v5, 0x5f7ffffc, v5
	v_rcp_iflag_f32_e32 v6, v6
	s_add_u32 s2, s6, s2
	v_mul_f32_e32 v7, 0x2f800000, v5
	s_addc_u32 s3, s7, s3
	s_add_i32 s6, s19, -2
	s_load_dword s8, s[0:1], 0x48
	s_load_dword s9, s[0:1], 0x54
	v_trunc_f32_e32 v7, v7
	v_cvt_f64_i32_e32 v[2:3], s6
	s_add_i32 s6, s19, -1
	v_fmac_f32_e32 v5, 0xcf800000, v7
	s_mul_hi_i32 s7, s6, s19
	s_mul_i32 s6, s6, s19
	v_cvt_u32_f32_e32 v11, v5
	v_mul_f32_e32 v5, 0x4f7ffffe, v6
	s_ashr_i32 s24, s19, 31
	s_lshl_b64 s[0:1], s[6:7], 2
	v_cvt_u32_f32_e32 v12, v7
	v_cvt_u32_f32_e32 v13, v5
	s_mov_b32 s25, s19
	s_add_u32 s19, s0, -7
	s_addc_u32 s26, s1, -1
	s_waitcnt lgkmcnt(0)
	s_and_b32 s0, s9, 0xffff
	s_lshr_b64 s[6:7], s[6:7], 1
	s_mul_hi_u32 s9, s0, s8
	s_mul_i32 s8, s0, s8
	s_mov_b64 s[10:11], 0
	s_brev_b32 s21, 8
	v_mov_b32_e32 v10, 0x260
	s_movk_i32 s27, 0xffe0
	v_mov_b32_e32 v14, 0x100
	v_mov_b32_e32 v15, 0xffffff80
	s_branch .LBB0_3
.LBB0_2:                                ;   in Loop: Header=BB0_3 Depth=1
	v_lshl_add_u64 v[0:1], v[0:1], 0, s[8:9]
	v_cmp_le_u64_e32 vcc, s[14:15], v[0:1]
	s_or_b64 s[10:11], vcc, s[10:11]
	s_andn2_b64 exec, exec, s[10:11]
	s_cbranch_execz .LBB0_14
.LBB0_3:                                ; =>This Inner Loop Header: Depth=1
	v_or_b32_e32 v5, s13, v1
	v_cmp_ne_u64_e32 vcc, 0, v[4:5]
                                        ; implicit-def: $vgpr6_vgpr7
	s_and_saveexec_b64 s[0:1], vcc
	s_xor_b64 s[22:23], exec, s[0:1]
	s_cbranch_execz .LBB0_5
; %bb.4:                                ;   in Loop: Header=BB0_3 Depth=1
	s_sub_u32 s28, 0, s12
	v_readfirstlane_b32 s0, v11
	v_readfirstlane_b32 s31, v12
	s_subb_u32 s29, 0, s13
	s_mul_hi_u32 s30, s28, s0
	s_mul_i32 s33, s28, s31
	s_mul_i32 s1, s29, s0
	s_add_i32 s30, s30, s33
	s_add_i32 s30, s30, s1
	s_mul_i32 s34, s28, s0
	s_mul_i32 s33, s0, s30
	s_mul_hi_u32 s35, s0, s34
	s_mul_hi_u32 s1, s0, s30
	s_add_u32 s33, s35, s33
	s_addc_u32 s1, 0, s1
	s_mul_hi_u32 s36, s31, s34
	s_mul_i32 s34, s31, s34
	s_add_u32 s33, s33, s34
	s_mul_hi_u32 s35, s31, s30
	s_addc_u32 s1, s1, s36
	s_addc_u32 s33, s35, 0
	s_mul_i32 s30, s31, s30
	s_add_u32 s1, s1, s30
	s_addc_u32 s30, 0, s33
	s_add_u32 s33, s0, s1
	s_cselect_b64 s[0:1], -1, 0
	s_cmp_lg_u64 s[0:1], 0
	s_addc_u32 s30, s31, s30
	s_mul_i32 s0, s28, s30
	s_mul_hi_u32 s1, s28, s33
	s_add_i32 s0, s1, s0
	s_mul_i32 s29, s29, s33
	s_add_i32 s0, s0, s29
	s_mul_i32 s28, s28, s33
	s_mul_hi_u32 s29, s30, s28
	s_mul_i32 s31, s30, s28
	s_mul_i32 s35, s33, s0
	s_mul_hi_u32 s28, s33, s28
	s_mul_hi_u32 s34, s33, s0
	s_add_u32 s28, s28, s35
	s_addc_u32 s34, 0, s34
	s_add_u32 s28, s28, s31
	s_mul_hi_u32 s1, s30, s0
	s_addc_u32 s28, s34, s29
	s_addc_u32 s1, s1, 0
	s_mul_i32 s0, s30, s0
	s_add_u32 s0, s28, s0
	s_addc_u32 s28, 0, s1
	s_add_u32 s29, s33, s0
	s_cselect_b64 s[0:1], -1, 0
	s_cmp_lg_u64 s[0:1], 0
	s_addc_u32 s28, s30, s28
	v_mad_u64_u32 v[6:7], s[0:1], v0, s28, 0
	v_mul_hi_u32 v8, v0, s29
	v_mov_b32_e32 v9, v4
	v_lshl_add_u64 v[6:7], v[8:9], 0, v[6:7]
	v_mad_u64_u32 v[16:17], s[0:1], v1, s29, 0
	v_add_co_u32_e32 v5, vcc, v6, v16
	v_mad_u64_u32 v[8:9], s[0:1], v1, s28, 0
	s_nop 0
	v_addc_co_u32_e32 v6, vcc, v7, v17, vcc
	v_mov_b32_e32 v7, v4
	s_nop 0
	v_addc_co_u32_e32 v9, vcc, 0, v9, vcc
	v_lshl_add_u64 v[6:7], v[6:7], 0, v[8:9]
	v_mul_lo_u32 v5, s13, v6
	v_mul_lo_u32 v16, s12, v7
	v_mad_u64_u32 v[8:9], s[0:1], s12, v6, 0
	v_add3_u32 v5, v9, v16, v5
	v_sub_u32_e32 v9, v1, v5
	v_mov_b32_e32 v16, s13
	v_sub_co_u32_e32 v18, vcc, v0, v8
	s_nop 1
	v_subb_co_u32_e64 v8, s[0:1], v9, v16, vcc
	v_subrev_co_u32_e64 v9, s[0:1], s12, v18
	v_subb_co_u32_e32 v5, vcc, v1, v5, vcc
	s_nop 0
	v_subbrev_co_u32_e64 v8, s[0:1], 0, v8, s[0:1]
	v_cmp_le_u32_e64 s[0:1], s13, v8
	v_cmp_le_u32_e32 vcc, s13, v5
	s_nop 0
	v_cndmask_b32_e64 v16, 0, -1, s[0:1]
	v_cmp_le_u32_e64 s[0:1], s12, v9
	s_nop 1
	v_cndmask_b32_e64 v9, 0, -1, s[0:1]
	v_cmp_eq_u32_e64 s[0:1], s13, v8
	s_nop 1
	v_cndmask_b32_e64 v19, v16, v9, s[0:1]
	v_lshl_add_u64 v[8:9], v[6:7], 0, 2
	v_lshl_add_u64 v[16:17], v[6:7], 0, 1
	v_cmp_ne_u32_e64 s[0:1], 0, v19
	s_nop 1
	v_cndmask_b32_e64 v9, v17, v9, s[0:1]
	v_cndmask_b32_e64 v17, 0, -1, vcc
	v_cmp_le_u32_e32 vcc, s12, v18
	s_nop 1
	v_cndmask_b32_e64 v18, 0, -1, vcc
	v_cmp_eq_u32_e32 vcc, s13, v5
	s_nop 1
	v_cndmask_b32_e32 v5, v17, v18, vcc
	v_cmp_ne_u32_e32 vcc, 0, v5
	v_cndmask_b32_e64 v5, v16, v8, s[0:1]
	s_nop 0
	v_cndmask_b32_e32 v7, v7, v9, vcc
	v_cndmask_b32_e32 v6, v6, v5, vcc
.LBB0_5:                                ;   in Loop: Header=BB0_3 Depth=1
	s_andn2_saveexec_b64 s[0:1], s[22:23]
	s_cbranch_execz .LBB0_7
; %bb.6:                                ;   in Loop: Header=BB0_3 Depth=1
	s_sub_i32 s22, 0, s12
	v_mul_lo_u32 v5, s22, v13
	v_mul_hi_u32 v5, v13, v5
	v_add_u32_e32 v5, v13, v5
	v_mul_hi_u32 v5, v0, v5
	v_mul_lo_u32 v6, v5, s12
	v_sub_u32_e32 v6, v0, v6
	v_subrev_u32_e32 v7, s12, v6
	v_cmp_le_u32_e32 vcc, s12, v6
	s_nop 1
	v_cndmask_b32_e32 v6, v6, v7, vcc
	v_add_u32_e32 v7, 1, v5
	v_cndmask_b32_e32 v5, v5, v7, vcc
	v_add_u32_e32 v7, 1, v5
	v_cmp_le_u32_e32 vcc, s12, v6
	s_nop 1
	v_cndmask_b32_e32 v6, v5, v7, vcc
	v_mov_b32_e32 v7, v4
.LBB0_7:                                ;   in Loop: Header=BB0_3 Depth=1
	s_or_b64 exec, exec, s[0:1]
	v_mul_lo_u32 v5, v7, s12
	v_mul_lo_u32 v16, v6, s13
	v_mad_u64_u32 v[8:9], s[0:1], v6, s12, 0
	v_add3_u32 v5, v9, v16, v5
	v_sub_co_u32_e32 v8, vcc, v0, v8
	s_cmpk_lt_i32 s18, 0x7a
	s_nop 0
	v_subb_co_u32_e32 v9, vcc, v1, v5, vcc
	s_mov_b64 s[0:1], -1
	s_cbranch_scc1 .LBB0_11
; %bb.8:                                ;   in Loop: Header=BB0_3 Depth=1
	s_cmpk_eq_i32 s18, 0x7a
	s_cbranch_scc0 .LBB0_10
; %bb.9:                                ;   in Loop: Header=BB0_3 Depth=1
	v_lshlrev_b64 v[16:17], 3, v[8:9]
	v_mov_b32_e32 v5, s26
	v_sub_co_u32_e32 v18, vcc, s19, v16
	v_cvt_f64_u32_e32 v[18:19], v18
	s_nop 0
	v_subb_co_u32_e32 v5, vcc, v5, v17, vcc
	v_cvt_f64_u32_e32 v[16:17], v5
	v_ldexp_f64 v[16:17], v[16:17], 32
	v_add_f64 v[16:17], v[16:17], v[18:19]
	v_cmp_gt_f64_e32 vcc, s[20:21], v[16:17]
	s_nop 1
	v_cndmask_b32_e32 v5, 0, v14, vcc
	v_ldexp_f64 v[16:17], v[16:17], v5
	v_rsq_f64_e32 v[18:19], v[16:17]
	v_cndmask_b32_e32 v5, 0, v15, vcc
	v_cmp_class_f64_e32 vcc, v[16:17], v10
	v_mul_f64 v[20:21], v[16:17], v[18:19]
	v_mul_f64 v[18:19], v[18:19], 0.5
	v_fma_f64 v[22:23], -v[18:19], v[20:21], 0.5
	v_fmac_f64_e32 v[20:21], v[20:21], v[22:23]
	v_fma_f64 v[24:25], -v[20:21], v[20:21], v[16:17]
	v_fmac_f64_e32 v[18:19], v[18:19], v[22:23]
	v_fmac_f64_e32 v[20:21], v[24:25], v[18:19]
	v_fma_f64 v[22:23], -v[20:21], v[20:21], v[16:17]
	v_fmac_f64_e32 v[20:21], v[22:23], v[18:19]
	v_ldexp_f64 v[18:19], v[20:21], v5
	v_cndmask_b32_e32 v17, v19, v17, vcc
	v_cndmask_b32_e32 v16, v18, v16, vcc
	v_fma_f64 v[16:17], v[16:17], 0.5, -0.5
	v_floor_f64_e32 v[16:17], v[16:17]
	v_add_f64 v[16:17], v[2:3], -v[16:17]
	v_trunc_f64_e32 v[16:17], v[16:17]
	v_ldexp_f64 v[18:19], v[16:17], s27
	v_floor_f64_e32 v[18:19], v[18:19]
	v_fmac_f64_e32 v[16:17], 0xc1f00000, v[18:19]
	v_cvt_u32_f64_e32 v16, v[16:17]
	v_cvt_u32_f64_e32 v17, v[18:19]
	v_mov_b32_e32 v5, s7
	v_subrev_co_u32_e32 v18, vcc, s6, v8
	v_mul_lo_u32 v24, v6, s5
	s_nop 0
	v_subb_co_u32_e32 v19, vcc, v9, v5, vcc
	v_mov_b32_e32 v5, s24
	v_sub_co_u32_e32 v20, vcc, s25, v16
	v_mul_lo_u32 v26, v17, s16
	s_nop 0
	v_subb_co_u32_e32 v21, vcc, v5, v17, vcc
	v_lshl_add_u64 v[22:23], v[20:21], 0, -1
	v_mul_lo_u32 v5, v23, v20
	v_mul_lo_u32 v23, v22, v21
	v_mad_u64_u32 v[20:21], s[0:1], v22, v20, 0
	v_add3_u32 v21, v21, v23, v5
	v_mul_lo_u32 v5, v7, s4
	v_mad_u64_u32 v[22:23], s[0:1], v6, s4, 0
	v_add3_u32 v23, v23, v24, v5
	v_mul_lo_u32 v5, v16, s17
	v_mad_u64_u32 v[24:25], s[0:1], v16, s16, 0
	v_add3_u32 v25, v25, v5, v26
	v_lshl_add_u64 v[22:23], v[22:23], 2, s[2:3]
	v_lshl_add_u64 v[22:23], v[24:25], 2, v[22:23]
	;; [unrolled: 1-line block ×4, first 2 shown]
	v_lshlrev_b64 v[18:19], 1, v[20:21]
	v_and_b32_e32 v18, -4, v18
	v_lshl_add_u64 v[16:17], v[16:17], 0, v[18:19]
	global_store_dword v[16:17], v4, off offset:4
.LBB0_10:                               ;   in Loop: Header=BB0_3 Depth=1
	s_mov_b64 s[0:1], 0
.LBB0_11:                               ;   in Loop: Header=BB0_3 Depth=1
	s_andn2_b64 vcc, exec, s[0:1]
	s_cbranch_vccnz .LBB0_2
; %bb.12:                               ;   in Loop: Header=BB0_3 Depth=1
	s_cmpk_lg_i32 s18, 0x79
	s_cbranch_scc1 .LBB0_2
; %bb.13:                               ;   in Loop: Header=BB0_3 Depth=1
	v_lshlrev_b64 v[16:17], 3, v[8:9]
	v_or_b32_e32 v5, 1, v16
	v_cvt_f64_u32_e32 v[16:17], v17
	v_ldexp_f64 v[16:17], v[16:17], 32
	v_cvt_f64_u32_e32 v[18:19], v5
	v_add_f64 v[16:17], v[16:17], v[18:19]
	v_cmp_gt_f64_e32 vcc, s[20:21], v[16:17]
	s_nop 1
	v_cndmask_b32_e32 v5, 0, v14, vcc
	v_ldexp_f64 v[16:17], v[16:17], v5
	v_rsq_f64_e32 v[18:19], v[16:17]
	v_cndmask_b32_e32 v5, 0, v15, vcc
	v_cmp_class_f64_e32 vcc, v[16:17], v10
	v_mul_f64 v[20:21], v[16:17], v[18:19]
	v_mul_f64 v[18:19], v[18:19], 0.5
	v_fma_f64 v[22:23], -v[18:19], v[20:21], 0.5
	v_fmac_f64_e32 v[20:21], v[20:21], v[22:23]
	v_fma_f64 v[24:25], -v[20:21], v[20:21], v[16:17]
	v_fmac_f64_e32 v[18:19], v[18:19], v[22:23]
	v_fmac_f64_e32 v[20:21], v[24:25], v[18:19]
	v_fma_f64 v[22:23], -v[20:21], v[20:21], v[16:17]
	v_fmac_f64_e32 v[20:21], v[22:23], v[18:19]
	v_ldexp_f64 v[18:19], v[20:21], v5
	v_cndmask_b32_e32 v17, v19, v17, vcc
	v_cndmask_b32_e32 v16, v18, v16, vcc
	v_add_f64 v[16:17], v[16:17], -1.0
	v_mul_f64 v[16:17], v[16:17], 0.5
	v_trunc_f64_e32 v[16:17], v[16:17]
	v_ldexp_f64 v[18:19], v[16:17], s27
	v_floor_f64_e32 v[18:19], v[18:19]
	v_fmac_f64_e32 v[16:17], 0xc1f00000, v[18:19]
	v_cvt_u32_f64_e32 v16, v[16:17]
	v_cvt_u32_f64_e32 v17, v[18:19]
	v_mad_u64_u32 v[18:19], s[0:1], v16, v16, v[16:17]
	v_mul_lo_u32 v5, v16, v17
	v_add3_u32 v19, v5, v19, v5
	v_lshrrev_b64 v[18:19], 1, v[18:19]
	v_sub_co_u32_e32 v8, vcc, v8, v18
	v_mul_lo_u32 v5, v7, s4
	v_mul_lo_u32 v18, v6, s5
	v_mad_u64_u32 v[6:7], s[0:1], v6, s4, 0
	v_subb_co_u32_e32 v9, vcc, v9, v19, vcc
	v_add3_u32 v7, v7, v18, v5
	v_mov_b64_e32 v[18:19], s[16:17]
	v_mul_lo_u32 v5, s17, v16
	v_mad_u64_u32 v[18:19], s[0:1], s16, v16, v[18:19]
	v_mul_lo_u32 v16, s16, v17
	v_add3_u32 v19, v5, v19, v16
	v_lshl_add_u64 v[6:7], v[6:7], 2, s[2:3]
	v_lshl_add_u64 v[6:7], v[18:19], 2, v[6:7]
	;; [unrolled: 1-line block ×3, first 2 shown]
	global_store_dword v[6:7], v4, off
	s_branch .LBB0_2
.LBB0_14:
	s_endpgm
	.section	.rodata,"a",@progbits
	.p2align	6, 0x0
	.amdhsa_kernel _ZL18rocblas_trtri_fillILi128EfPfEvP15_rocblas_handle13rocblas_fill_ililT1_llii
		.amdhsa_group_segment_fixed_size 0
		.amdhsa_private_segment_fixed_size 0
		.amdhsa_kernarg_size 328
		.amdhsa_user_sgpr_count 2
		.amdhsa_user_sgpr_dispatch_ptr 0
		.amdhsa_user_sgpr_queue_ptr 0
		.amdhsa_user_sgpr_kernarg_segment_ptr 1
		.amdhsa_user_sgpr_dispatch_id 0
		.amdhsa_user_sgpr_kernarg_preload_length 0
		.amdhsa_user_sgpr_kernarg_preload_offset 0
		.amdhsa_user_sgpr_private_segment_size 0
		.amdhsa_uses_dynamic_stack 0
		.amdhsa_enable_private_segment 0
		.amdhsa_system_sgpr_workgroup_id_x 1
		.amdhsa_system_sgpr_workgroup_id_y 0
		.amdhsa_system_sgpr_workgroup_id_z 1
		.amdhsa_system_sgpr_workgroup_info 0
		.amdhsa_system_vgpr_workitem_id 0
		.amdhsa_next_free_vgpr 27
		.amdhsa_next_free_sgpr 37
		.amdhsa_accum_offset 28
		.amdhsa_reserve_vcc 1
		.amdhsa_float_round_mode_32 0
		.amdhsa_float_round_mode_16_64 0
		.amdhsa_float_denorm_mode_32 3
		.amdhsa_float_denorm_mode_16_64 3
		.amdhsa_dx10_clamp 1
		.amdhsa_ieee_mode 1
		.amdhsa_fp16_overflow 0
		.amdhsa_tg_split 0
		.amdhsa_exception_fp_ieee_invalid_op 0
		.amdhsa_exception_fp_denorm_src 0
		.amdhsa_exception_fp_ieee_div_zero 0
		.amdhsa_exception_fp_ieee_overflow 0
		.amdhsa_exception_fp_ieee_underflow 0
		.amdhsa_exception_fp_ieee_inexact 0
		.amdhsa_exception_int_div_zero 0
	.end_amdhsa_kernel
	.section	.text._ZL18rocblas_trtri_fillILi128EfPfEvP15_rocblas_handle13rocblas_fill_ililT1_llii,"axG",@progbits,_ZL18rocblas_trtri_fillILi128EfPfEvP15_rocblas_handle13rocblas_fill_ililT1_llii,comdat
.Lfunc_end0:
	.size	_ZL18rocblas_trtri_fillILi128EfPfEvP15_rocblas_handle13rocblas_fill_ililT1_llii, .Lfunc_end0-_ZL18rocblas_trtri_fillILi128EfPfEvP15_rocblas_handle13rocblas_fill_ililT1_llii
                                        ; -- End function
	.set _ZL18rocblas_trtri_fillILi128EfPfEvP15_rocblas_handle13rocblas_fill_ililT1_llii.num_vgpr, 27
	.set _ZL18rocblas_trtri_fillILi128EfPfEvP15_rocblas_handle13rocblas_fill_ililT1_llii.num_agpr, 0
	.set _ZL18rocblas_trtri_fillILi128EfPfEvP15_rocblas_handle13rocblas_fill_ililT1_llii.numbered_sgpr, 37
	.set _ZL18rocblas_trtri_fillILi128EfPfEvP15_rocblas_handle13rocblas_fill_ililT1_llii.num_named_barrier, 0
	.set _ZL18rocblas_trtri_fillILi128EfPfEvP15_rocblas_handle13rocblas_fill_ililT1_llii.private_seg_size, 0
	.set _ZL18rocblas_trtri_fillILi128EfPfEvP15_rocblas_handle13rocblas_fill_ililT1_llii.uses_vcc, 1
	.set _ZL18rocblas_trtri_fillILi128EfPfEvP15_rocblas_handle13rocblas_fill_ililT1_llii.uses_flat_scratch, 0
	.set _ZL18rocblas_trtri_fillILi128EfPfEvP15_rocblas_handle13rocblas_fill_ililT1_llii.has_dyn_sized_stack, 0
	.set _ZL18rocblas_trtri_fillILi128EfPfEvP15_rocblas_handle13rocblas_fill_ililT1_llii.has_recursion, 0
	.set _ZL18rocblas_trtri_fillILi128EfPfEvP15_rocblas_handle13rocblas_fill_ililT1_llii.has_indirect_call, 0
	.section	.AMDGPU.csdata,"",@progbits
; Kernel info:
; codeLenInByte = 1844
; TotalNumSgprs: 43
; NumVgprs: 27
; NumAgprs: 0
; TotalNumVgprs: 27
; ScratchSize: 0
; MemoryBound: 0
; FloatMode: 240
; IeeeMode: 1
; LDSByteSize: 0 bytes/workgroup (compile time only)
; SGPRBlocks: 5
; VGPRBlocks: 3
; NumSGPRsForWavesPerEU: 43
; NumVGPRsForWavesPerEU: 27
; AccumOffset: 28
; Occupancy: 8
; WaveLimiterHint : 0
; COMPUTE_PGM_RSRC2:SCRATCH_EN: 0
; COMPUTE_PGM_RSRC2:USER_SGPR: 2
; COMPUTE_PGM_RSRC2:TRAP_HANDLER: 0
; COMPUTE_PGM_RSRC2:TGID_X_EN: 1
; COMPUTE_PGM_RSRC2:TGID_Y_EN: 0
; COMPUTE_PGM_RSRC2:TGID_Z_EN: 1
; COMPUTE_PGM_RSRC2:TIDIG_COMP_CNT: 0
; COMPUTE_PGM_RSRC3_GFX90A:ACCUM_OFFSET: 6
; COMPUTE_PGM_RSRC3_GFX90A:TG_SPLIT: 0
	.section	.text._ZL26rocblas_trtri_small_kernelILi16EfPKfPfEv13rocblas_fill_17rocblas_diagonal_iT1_lillT2_lilli,"axG",@progbits,_ZL26rocblas_trtri_small_kernelILi16EfPKfPfEv13rocblas_fill_17rocblas_diagonal_iT1_lillT2_lilli,comdat
	.globl	_ZL26rocblas_trtri_small_kernelILi16EfPKfPfEv13rocblas_fill_17rocblas_diagonal_iT1_lillT2_lilli ; -- Begin function _ZL26rocblas_trtri_small_kernelILi16EfPKfPfEv13rocblas_fill_17rocblas_diagonal_iT1_lillT2_lilli
	.p2align	8
	.type	_ZL26rocblas_trtri_small_kernelILi16EfPKfPfEv13rocblas_fill_17rocblas_diagonal_iT1_lillT2_lilli,@function
_ZL26rocblas_trtri_small_kernelILi16EfPKfPfEv13rocblas_fill_17rocblas_diagonal_iT1_lillT2_lilli: ; @_ZL26rocblas_trtri_small_kernelILi16EfPKfPfEv13rocblas_fill_17rocblas_diagonal_iT1_lillT2_lilli
; %bb.0:
	s_load_dwordx4 s[16:19], s[0:1], 0x0
	s_waitcnt lgkmcnt(0)
	s_cmp_lt_i32 s18, 1
	s_cbranch_scc1 .LBB1_62
; %bb.1:
	s_load_dwordx8 s[8:15], s[0:1], 0x28
	v_cmp_le_u32_e64 s[4:5], s18, v0
	v_cmp_gt_u32_e64 s[6:7], s18, v0
	s_and_saveexec_b64 s[24:25], s[6:7]
	s_cbranch_execz .LBB1_22
; %bb.2:
	s_load_dwordx4 s[20:23], s[0:1], 0x10
	s_load_dword s26, s[0:1], 0x20
	s_waitcnt lgkmcnt(0)
	s_mul_i32 s9, s9, s3
	s_mul_hi_u32 s19, s8, s3
	s_add_i32 s9, s19, s9
	s_mul_i32 s8, s8, s3
	s_lshl_b64 s[28:29], s[8:9], 2
	s_add_u32 s19, s20, s28
	s_addc_u32 s27, s21, s29
	s_lshl_b64 s[8:9], s[22:23], 2
	s_add_u32 s19, s19, s8
	s_mul_i32 s11, s11, s2
	s_mul_hi_u32 s22, s10, s2
	s_addc_u32 s23, s27, s9
	s_add_i32 s11, s22, s11
	s_mul_i32 s10, s10, s2
	s_lshl_b64 s[10:11], s[10:11], 2
	s_add_u32 s22, s19, s10
	s_addc_u32 s23, s23, s11
	s_cmpk_lg_i32 s16, 0x7a
	s_mov_b64 s[30:31], -1
	s_cbranch_scc0 .LBB1_11
; %bb.3:
	s_add_i32 s19, s18, -1
	v_sub_u32_e32 v1, s18, v0
	v_mov_b32_e32 v3, 0
	s_ashr_i32 s27, s26, 31
	v_cmp_lt_u32_e32 vcc, 1, v1
	s_mov_b64 s[34:35], -1
	v_mov_b32_e32 v2, s19
	s_and_saveexec_b64 s[30:31], vcc
	s_cbranch_execz .LBB1_7
; %bb.4:
	v_sub_u32_e32 v4, s19, v0
	v_lshlrev_b32_e32 v2, 2, v0
	v_lshlrev_b32_e32 v5, 2, v4
	v_and_b32_e32 v4, -2, v1
	v_lshl_add_u64 v[2:3], s[22:23], 0, v[2:3]
	s_mov_b32 s33, s19
	s_mov_b32 s36, s26
	;; [unrolled: 1-line block ×4, first 2 shown]
	s_add_i32 s39, s19, -1
	s_mov_b32 s40, s19
	s_mov_b64 s[34:35], 0
	v_mov_b32_e32 v6, v4
.LBB1_5:                                ; =>This Inner Loop Header: Depth=1
	s_mul_i32 s45, s27, s40
	s_mul_hi_u32 s46, s26, s40
	s_mul_i32 s41, s37, s39
	s_mul_hi_u32 s43, s36, s39
	s_mul_i32 s44, s26, s40
	s_add_i32 s45, s46, s45
	s_mul_i32 s42, s36, s39
	s_add_i32 s43, s43, s41
	v_lshl_add_u64 v[8:9], s[44:45], 2, v[2:3]
	v_lshl_add_u64 v[10:11], s[42:43], 2, v[2:3]
	global_load_dword v7, v[8:9], off
	global_load_dword v12, v[10:11], off
	s_sub_i32 s41, s19, s40
	v_add_u32_e32 v6, -2, v6
	s_sub_i32 s42, s33, s39
	s_add_i32 s39, s39, -2
	s_add_i32 s40, s40, -2
	s_mul_i32 s41, s41, s18
	v_cmp_eq_u32_e32 vcc, 0, v6
	s_mul_i32 s42, s42, s38
	v_lshl_add_u32 v8, s41, 2, v5
	s_or_b64 s[34:35], vcc, s[34:35]
	v_lshl_add_u32 v9, s42, 2, v5
	s_waitcnt vmcnt(1)
	ds_write_b32 v8, v7
	s_waitcnt vmcnt(0)
	ds_write_b32 v9, v12
	s_andn2_b64 exec, exec, s[34:35]
	s_cbranch_execnz .LBB1_5
; %bb.6:
	s_or_b64 exec, exec, s[34:35]
	v_cmp_ne_u32_e32 vcc, v1, v4
	v_sub_u32_e32 v2, s19, v4
	s_orn2_b64 s[34:35], vcc, exec
.LBB1_7:
	s_or_b64 exec, exec, s[30:31]
	s_and_saveexec_b64 s[30:31], s[34:35]
	s_cbranch_execz .LBB1_10
; %bb.8:
	s_lshl_b32 s19, s18, 2
	v_lshlrev_b32_e32 v3, 2, v2
	v_sub_u32_e32 v3, s19, v3
	v_mul_lo_u32 v3, s18, v3
	v_lshlrev_b32_e32 v6, 2, v0
	v_mad_u64_u32 v[8:9], s[34:35], s26, v2, 0
	v_sub_u32_e32 v3, v3, v6
	s_add_u32 s33, s10, s28
	v_mov_b32_e32 v10, v9
	v_add_u32_e32 v1, 1, v2
	v_add_u32_e32 v4, -4, v3
	s_addc_u32 s36, s11, s29
	v_mad_u64_u32 v[2:3], s[34:35], s27, v2, v[10:11]
	s_add_u32 s34, s8, s33
	v_mov_b32_e32 v9, v2
	s_addc_u32 s35, s9, s36
	v_lshl_add_u64 v[2:3], v[8:9], 2, s[34:35]
	v_mov_b32_e32 v7, 0
	s_lshl_b64 s[36:37], s[26:27], 2
	v_lshl_add_u64 v[2:3], v[2:3], 0, v[6:7]
	s_sub_u32 s36, 0, s36
	v_lshl_add_u64 v[2:3], s[20:21], 0, v[2:3]
	s_mov_b64 s[34:35], 0
	s_subb_u32 s37, 0, s37
.LBB1_9:                                ; =>This Inner Loop Header: Depth=1
	global_load_dword v5, v[2:3], off
	v_add_u32_e32 v1, -1, v1
	v_cmp_le_u32_e32 vcc, v1, v0
	v_lshl_add_u64 v[2:3], v[2:3], 0, s[36:37]
	s_or_b64 s[34:35], vcc, s[34:35]
	s_waitcnt vmcnt(0)
	ds_write_b32 v4, v5
	v_add_u32_e32 v4, s19, v4
	s_andn2_b64 exec, exec, s[34:35]
	s_cbranch_execnz .LBB1_9
.LBB1_10:
	s_or_b64 exec, exec, s[30:31]
	s_mov_b64 s[30:31], 0
.LBB1_11:
	s_andn2_b64 vcc, exec, s[30:31]
	s_cbranch_vccnz .LBB1_22
; %bb.12:
	v_mov_b32_e32 v3, 0
	v_add_u32_e32 v1, 1, v0
	v_cmp_gt_u32_e64 s[30:31], 3, v0
	v_cmp_lt_u32_e32 vcc, 2, v0
	s_and_saveexec_b64 s[34:35], vcc
	s_cbranch_execz .LBB1_19
; %bb.13:
	s_cmp_eq_u32 s26, 1
	s_cselect_b64 s[36:37], -1, 0
	s_cmp_eq_u32 s18, 1
	s_cselect_b64 s[38:39], -1, 0
	s_and_b64 s[36:37], s[36:37], s[38:39]
	s_and_b64 vcc, exec, s[36:37]
	s_cbranch_vccz .LBB1_17
; %bb.14:
	v_lshlrev_b32_e32 v2, 2, v0
	v_mov_b32_e32 v3, 0
	v_lshl_add_u64 v[4:5], s[22:23], 0, v[2:3]
	v_and_b32_e32 v3, 30, v1
	s_mov_b64 s[22:23], 0
	v_mov_b32_e32 v6, v3
.LBB1_15:                               ; =>This Inner Loop Header: Depth=1
	global_load_dwordx2 v[8:9], v[4:5], off
	v_add_u32_e32 v6, -2, v6
	v_cmp_eq_u32_e32 vcc, 0, v6
	v_lshl_add_u64 v[4:5], v[4:5], 0, 8
	s_or_b64 s[22:23], vcc, s[22:23]
	s_waitcnt vmcnt(0)
	ds_write2_b32 v2, v8, v9 offset1:1
	v_add_u32_e32 v2, 8, v2
	s_andn2_b64 exec, exec, s[22:23]
	s_cbranch_execnz .LBB1_15
; %bb.16:
	s_or_b64 exec, exec, s[22:23]
	v_cmp_ne_u32_e64 s[22:23], v1, v3
	s_branch .LBB1_18
.LBB1_17:
	s_mov_b64 s[22:23], -1
	v_mov_b32_e32 v3, 0
.LBB1_18:
	s_andn2_b64 s[30:31], s[30:31], exec
	s_and_b64 s[22:23], s[22:23], exec
	s_or_b64 s[30:31], s[30:31], s[22:23]
.LBB1_19:
	s_or_b64 exec, exec, s[34:35]
	s_and_b64 exec, exec, s[30:31]
	s_cbranch_execz .LBB1_22
; %bb.20:
	s_ashr_i32 s27, s26, 31
	s_lshl_b32 s19, s18, 2
	s_add_u32 s22, s10, s28
	s_addc_u32 s23, s11, s29
	s_add_u32 s8, s8, s22
	v_mad_i64_i32 v[6:7], s[10:11], s26, v3, 0
	s_addc_u32 s9, s9, s23
	v_sub_u32_e32 v1, v1, v3
	v_mul_lo_u32 v4, v3, s18
	v_lshlrev_b32_e32 v2, 2, v0
	v_lshl_add_u64 v[6:7], v[6:7], 2, s[8:9]
	v_mov_b32_e32 v3, 0
	v_lshl_add_u32 v4, v4, 2, v2
	v_lshl_add_u64 v[2:3], v[6:7], 0, v[2:3]
	v_lshl_add_u64 v[2:3], s[20:21], 0, v[2:3]
	s_lshl_b64 s[8:9], s[26:27], 2
	s_mov_b64 s[10:11], 0
.LBB1_21:                               ; =>This Inner Loop Header: Depth=1
	global_load_dword v5, v[2:3], off
	v_add_u32_e32 v1, -1, v1
	v_cmp_eq_u32_e32 vcc, 0, v1
	v_lshl_add_u64 v[2:3], v[2:3], 0, s[8:9]
	s_or_b64 s[10:11], vcc, s[10:11]
	s_waitcnt vmcnt(0)
	ds_write_b32 v4, v5
	v_add_u32_e32 v4, s19, v4
	s_andn2_b64 exec, exec, s[10:11]
	s_cbranch_execnz .LBB1_21
.LBB1_22:
	s_or_b64 exec, exec, s[24:25]
	s_waitcnt lgkmcnt(0)
	; wave barrier
                                        ; implicit-def: $vgpr4
	s_and_saveexec_b64 s[8:9], s[4:5]
	s_xor_b64 s[4:5], exec, s[8:9]
; %bb.23:
	v_mad_u64_u32 v[4:5], s[8:9], v0, s18, v[0:1]
; %bb.24:
	s_andn2_saveexec_b64 s[4:5], s[4:5]
	s_cbranch_execz .LBB1_30
; %bb.25:
	v_mad_u64_u32 v[4:5], s[8:9], v0, s18, v[0:1]
	s_cmpk_eq_i32 s17, 0x84
	v_lshlrev_b32_e32 v1, 2, v4
	v_mov_b32_e32 v3, 1.0
	s_cbranch_scc1 .LBB1_29
; %bb.26:
	ds_read_b32 v2, v1
	v_mov_b32_e32 v3, 1.0
	s_waitcnt lgkmcnt(0)
	v_cmp_neq_f32_e32 vcc, 0, v2
	s_and_saveexec_b64 s[8:9], vcc
	s_cbranch_execz .LBB1_28
; %bb.27:
	v_div_scale_f32 v3, s[10:11], v2, v2, 1.0
	v_rcp_f32_e32 v5, v3
	v_div_scale_f32 v6, vcc, 1.0, v2, 1.0
	v_fma_f32 v7, -v3, v5, 1.0
	v_fmac_f32_e32 v5, v7, v5
	v_mul_f32_e32 v7, v6, v5
	v_fma_f32 v8, -v3, v7, v6
	v_fmac_f32_e32 v7, v8, v5
	v_fma_f32 v3, -v3, v7, v6
	v_div_fmas_f32 v3, v3, v5, v7
	v_div_fixup_f32 v3, v3, v2, 1.0
.LBB1_28:
	s_or_b64 exec, exec, s[8:9]
.LBB1_29:
	ds_write_b32 v1, v3
.LBB1_30:
	s_or_b64 exec, exec, s[4:5]
	v_lshlrev_b32_e32 v2, 2, v0
	s_lshl_b32 s19, s18, 2
	v_lshlrev_b32_e32 v1, 2, v4
	s_mov_b32 s8, 4
	s_add_i32 s9, s19, 4
	v_add_u32_e32 v3, s19, v2
	s_mov_b32 s10, 0
	s_waitcnt lgkmcnt(0)
	; wave barrier
	s_branch .LBB1_32
.LBB1_31:                               ;   in Loop: Header=BB1_32 Depth=1
	s_add_i32 s8, s8, s9
	s_cmp_eq_u32 s10, s18
	v_add_u32_e32 v3, s19, v3
	; wave barrier
	s_cbranch_scc1 .LBB1_41
.LBB1_32:                               ; =>This Loop Header: Depth=1
                                        ;     Child Loop BB1_37 Depth 2
	v_cmp_lt_u32_e32 vcc, s10, v0
	s_mul_i32 s11, s10, s18
	v_mov_b32_e32 v4, 0
	s_and_saveexec_b64 s[4:5], vcc
	s_cbranch_execz .LBB1_34
; %bb.33:                               ;   in Loop: Header=BB1_32 Depth=1
	s_lshl_b32 s17, s10, 2
	s_lshl_b32 s20, s11, 2
	s_add_i32 s17, s17, s20
	v_add_u32_e32 v4, s20, v2
	v_mov_b32_e32 v5, s17
	ds_read_b32 v4, v4
	ds_read_b32 v5, v5
	s_waitcnt lgkmcnt(0)
	v_fma_f32 v4, v4, v5, 0
.LBB1_34:                               ;   in Loop: Header=BB1_32 Depth=1
	s_or_b64 exec, exec, s[4:5]
	s_add_i32 s10, s10, 1
	s_cmp_ge_i32 s10, s18
	; wave barrier
	s_cbranch_scc1 .LBB1_31
; %bb.35:                               ;   in Loop: Header=BB1_32 Depth=1
	v_lshl_add_u32 v5, s11, 2, v2
	v_mov_b32_e32 v6, v3
	s_mov_b32 s11, s8
	s_mov_b32 s17, s10
	s_branch .LBB1_37
.LBB1_36:                               ;   in Loop: Header=BB1_37 Depth=2
	s_or_b64 exec, exec, s[4:5]
	s_add_i32 s17, s17, 1
	s_add_i32 s11, s11, 4
	s_cmp_eq_u32 s18, s17
	v_add_u32_e32 v6, s19, v6
	; wave barrier
	s_cbranch_scc1 .LBB1_31
.LBB1_37:                               ;   Parent Loop BB1_32 Depth=1
                                        ; =>  This Inner Loop Header: Depth=2
	v_cmp_eq_u32_e32 vcc, s17, v0
	s_and_saveexec_b64 s[4:5], vcc
	s_cbranch_execz .LBB1_39
; %bb.38:                               ;   in Loop: Header=BB1_37 Depth=2
	ds_read_b32 v7, v1
	s_waitcnt lgkmcnt(0)
	v_mul_f32_e64 v7, -v4, v7
	ds_write_b32 v5, v7
.LBB1_39:                               ;   in Loop: Header=BB1_37 Depth=2
	s_or_b64 exec, exec, s[4:5]
	v_cmp_lt_u32_e32 vcc, s17, v0
	s_waitcnt lgkmcnt(0)
	; wave barrier
	s_and_saveexec_b64 s[4:5], vcc
	s_cbranch_execz .LBB1_36
; %bb.40:                               ;   in Loop: Header=BB1_37 Depth=2
	v_mov_b32_e32 v8, s11
	ds_read_b32 v7, v6
	ds_read_b32 v8, v8
	s_waitcnt lgkmcnt(0)
	v_fmac_f32_e32 v4, v7, v8
	s_branch .LBB1_36
.LBB1_41:
	s_and_saveexec_b64 s[4:5], s[6:7]
	s_cbranch_execz .LBB1_62
; %bb.42:
	s_load_dwordx4 s[8:11], s[0:1], 0x50
	s_load_dword s4, s[0:1], 0x48
	s_waitcnt lgkmcnt(0)
	s_mul_i32 s1, s9, s3
	s_mul_hi_u32 s5, s8, s3
	s_mul_i32 s0, s8, s3
	s_add_i32 s1, s5, s1
	s_lshl_b64 s[6:7], s[0:1], 2
	s_add_u32 s3, s12, s6
	s_addc_u32 s5, s13, s7
	s_lshl_b64 s[0:1], s[14:15], 2
	s_add_u32 s8, s3, s0
	s_mul_i32 s3, s11, s2
	s_mul_hi_u32 s9, s10, s2
	s_addc_u32 s5, s5, s1
	s_add_i32 s3, s9, s3
	s_mul_i32 s2, s10, s2
	s_lshl_b64 s[2:3], s[2:3], 2
	s_add_u32 s8, s8, s2
	s_addc_u32 s9, s5, s3
	s_cmpk_lg_i32 s16, 0x7a
	s_mov_b64 s[10:11], -1
	s_cbranch_scc0 .LBB1_51
; %bb.43:
	s_add_i32 s16, s18, -1
	v_sub_u32_e32 v1, s18, v0
	v_mov_b32_e32 v5, 0
	s_ashr_i32 s5, s4, 31
	v_cmp_lt_u32_e32 vcc, 1, v1
	s_mov_b64 s[14:15], -1
	v_mov_b32_e32 v7, s16
	s_and_saveexec_b64 s[10:11], vcc
	s_cbranch_execz .LBB1_47
; %bb.44:
	v_sub_u32_e32 v3, s16, v0
	v_lshlrev_b32_e32 v4, 2, v0
	v_and_b32_e32 v6, -2, v1
	v_lshlrev_b32_e32 v3, 2, v3
	v_lshl_add_u64 v[4:5], s[8:9], 0, v[4:5]
	s_mov_b32 s17, s16
	s_mov_b32 s20, s4
	;; [unrolled: 1-line block ×4, first 2 shown]
	s_add_i32 s23, s16, -1
	s_mov_b32 s24, s16
	s_mov_b64 s[14:15], 0
	v_mov_b32_e32 v7, v6
.LBB1_45:                               ; =>This Inner Loop Header: Depth=1
	s_sub_i32 s25, s16, s24
	s_sub_i32 s27, s17, s23
	s_mul_i32 s25, s25, s18
	s_mul_i32 s34, s27, s22
	v_lshl_add_u32 v8, s25, 2, v3
	v_lshl_add_u32 v9, s34, 2, v3
	ds_read_b32 v12, v8
	ds_read_b32 v13, v9
	s_mul_i32 s29, s21, s23
	s_mul_hi_u32 s30, s20, s23
	s_mul_i32 s31, s5, s24
	s_mul_hi_u32 s33, s4, s24
	v_add_u32_e32 v7, -2, v7
	s_mul_i32 s26, s20, s23
	s_mul_i32 s28, s4, s24
	s_add_i32 s23, s23, -2
	s_add_i32 s24, s24, -2
	s_add_i32 s27, s30, s29
	s_add_i32 s29, s33, s31
	v_cmp_eq_u32_e32 vcc, 0, v7
	v_lshl_add_u64 v[8:9], s[28:29], 2, v[4:5]
	s_or_b64 s[14:15], vcc, s[14:15]
	v_lshl_add_u64 v[10:11], s[26:27], 2, v[4:5]
	s_waitcnt lgkmcnt(1)
	global_store_dword v[8:9], v12, off
	s_waitcnt lgkmcnt(0)
	global_store_dword v[10:11], v13, off
	s_andn2_b64 exec, exec, s[14:15]
	s_cbranch_execnz .LBB1_45
; %bb.46:
	s_or_b64 exec, exec, s[14:15]
	v_cmp_ne_u32_e32 vcc, v1, v6
	v_sub_u32_e32 v7, s16, v6
	s_orn2_b64 s[14:15], vcc, exec
.LBB1_47:
	s_or_b64 exec, exec, s[10:11]
	s_and_saveexec_b64 s[10:11], s[14:15]
	s_cbranch_execz .LBB1_50
; %bb.48:
	v_mad_u64_u32 v[4:5], s[14:15], s4, v7, 0
	s_add_u32 s16, s2, s6
	v_mov_b32_e32 v6, v5
	s_addc_u32 s17, s3, s7
	v_mad_u64_u32 v[8:9], s[14:15], s5, v7, v[6:7]
	s_add_u32 s14, s0, s16
	v_mov_b32_e32 v5, v8
	s_addc_u32 s15, s1, s17
	v_lshl_add_u64 v[4:5], v[4:5], 2, s[14:15]
	v_mov_b32_e32 v3, 0
	v_lshl_add_u64 v[4:5], v[4:5], 0, v[2:3]
	v_lshlrev_b32_e32 v3, 2, v7
	v_sub_u32_e32 v3, s19, v3
	s_lshl_b64 s[16:17], s[4:5], 2
	v_mul_lo_u32 v3, s18, v3
	s_sub_u32 s16, 0, s16
	v_sub_u32_e32 v3, v3, v2
	v_add_u32_e32 v1, 1, v7
	v_lshl_add_u64 v[4:5], s[12:13], 0, v[4:5]
	s_mov_b64 s[14:15], 0
	s_subb_u32 s17, 0, s17
	v_add_u32_e32 v3, -4, v3
.LBB1_49:                               ; =>This Inner Loop Header: Depth=1
	ds_read_b32 v6, v3
	v_add_u32_e32 v1, -1, v1
	v_cmp_le_u32_e32 vcc, v1, v0
	v_add_u32_e32 v3, s19, v3
	s_or_b64 s[14:15], vcc, s[14:15]
	s_waitcnt lgkmcnt(0)
	global_store_dword v[4:5], v6, off
	v_lshl_add_u64 v[4:5], v[4:5], 0, s[16:17]
	s_andn2_b64 exec, exec, s[14:15]
	s_cbranch_execnz .LBB1_49
.LBB1_50:
	s_or_b64 exec, exec, s[10:11]
	s_mov_b64 s[10:11], 0
.LBB1_51:
	s_andn2_b64 vcc, exec, s[10:11]
	s_cbranch_vccnz .LBB1_62
; %bb.52:
	v_mov_b32_e32 v4, 0
	v_add_u32_e32 v3, 1, v0
	v_cmp_gt_u32_e64 s[10:11], 3, v0
	v_cmp_lt_u32_e32 vcc, 2, v0
	s_and_saveexec_b64 s[14:15], vcc
	s_cbranch_execz .LBB1_59
; %bb.53:
	s_cmp_eq_u32 s18, 1
	s_cselect_b64 s[16:17], -1, 0
	s_cmp_eq_u32 s4, 1
	s_cselect_b64 s[20:21], -1, 0
	s_and_b64 s[16:17], s[16:17], s[20:21]
	s_and_b64 vcc, exec, s[16:17]
	s_cbranch_vccz .LBB1_57
; %bb.54:
	v_lshlrev_b32_e32 v0, 2, v0
	v_mov_b32_e32 v1, 0
	v_and_b32_e32 v4, 30, v3
	v_lshl_add_u64 v[0:1], s[8:9], 0, v[0:1]
	s_mov_b64 s[8:9], 0
	v_mov_b32_e32 v5, v2
	v_mov_b32_e32 v6, v4
.LBB1_55:                               ; =>This Inner Loop Header: Depth=1
	ds_read2_b32 v[8:9], v5 offset1:1
	v_add_u32_e32 v6, -2, v6
	v_cmp_eq_u32_e32 vcc, 0, v6
	v_add_u32_e32 v5, 8, v5
	s_or_b64 s[8:9], vcc, s[8:9]
	s_waitcnt lgkmcnt(0)
	global_store_dwordx2 v[0:1], v[8:9], off
	v_lshl_add_u64 v[0:1], v[0:1], 0, 8
	s_andn2_b64 exec, exec, s[8:9]
	s_cbranch_execnz .LBB1_55
; %bb.56:
	s_or_b64 exec, exec, s[8:9]
	v_cmp_ne_u32_e64 s[8:9], v3, v4
	s_branch .LBB1_58
.LBB1_57:
	s_mov_b64 s[8:9], -1
	v_mov_b32_e32 v4, 0
.LBB1_58:
	s_andn2_b64 s[10:11], s[10:11], exec
	s_and_b64 s[8:9], s[8:9], exec
	s_or_b64 s[10:11], s[10:11], s[8:9]
.LBB1_59:
	s_or_b64 exec, exec, s[14:15]
	s_and_b64 exec, exec, s[10:11]
	s_cbranch_execz .LBB1_62
; %bb.60:
	s_ashr_i32 s5, s4, 31
	s_add_u32 s6, s2, s6
	s_addc_u32 s7, s3, s7
	s_add_u32 s0, s0, s6
	v_mad_i64_i32 v[0:1], s[2:3], s4, v4, 0
	s_addc_u32 s1, s1, s7
	v_sub_u32_e32 v5, v3, v4
	v_lshl_add_u64 v[0:1], v[0:1], 2, s[0:1]
	v_mov_b32_e32 v3, 0
	v_lshl_add_u64 v[0:1], v[0:1], 0, v[2:3]
	v_mul_lo_u32 v3, v4, s18
	v_lshl_add_u64 v[0:1], s[12:13], 0, v[0:1]
	s_lshl_b64 s[0:1], s[4:5], 2
	v_lshl_add_u32 v2, v3, 2, v2
	s_mov_b64 s[2:3], 0
.LBB1_61:                               ; =>This Inner Loop Header: Depth=1
	ds_read_b32 v3, v2
	v_add_u32_e32 v5, -1, v5
	v_cmp_eq_u32_e32 vcc, 0, v5
	v_add_u32_e32 v2, s19, v2
	s_or_b64 s[2:3], vcc, s[2:3]
	s_waitcnt lgkmcnt(0)
	global_store_dword v[0:1], v3, off
	v_lshl_add_u64 v[0:1], v[0:1], 0, s[0:1]
	s_andn2_b64 exec, exec, s[2:3]
	s_cbranch_execnz .LBB1_61
.LBB1_62:
	s_endpgm
	.section	.rodata,"a",@progbits
	.p2align	6, 0x0
	.amdhsa_kernel _ZL26rocblas_trtri_small_kernelILi16EfPKfPfEv13rocblas_fill_17rocblas_diagonal_iT1_lillT2_lilli
		.amdhsa_group_segment_fixed_size 1024
		.amdhsa_private_segment_fixed_size 0
		.amdhsa_kernarg_size 100
		.amdhsa_user_sgpr_count 2
		.amdhsa_user_sgpr_dispatch_ptr 0
		.amdhsa_user_sgpr_queue_ptr 0
		.amdhsa_user_sgpr_kernarg_segment_ptr 1
		.amdhsa_user_sgpr_dispatch_id 0
		.amdhsa_user_sgpr_kernarg_preload_length 0
		.amdhsa_user_sgpr_kernarg_preload_offset 0
		.amdhsa_user_sgpr_private_segment_size 0
		.amdhsa_uses_dynamic_stack 0
		.amdhsa_enable_private_segment 0
		.amdhsa_system_sgpr_workgroup_id_x 1
		.amdhsa_system_sgpr_workgroup_id_y 0
		.amdhsa_system_sgpr_workgroup_id_z 1
		.amdhsa_system_sgpr_workgroup_info 0
		.amdhsa_system_vgpr_workitem_id 0
		.amdhsa_next_free_vgpr 14
		.amdhsa_next_free_sgpr 47
		.amdhsa_accum_offset 16
		.amdhsa_reserve_vcc 1
		.amdhsa_float_round_mode_32 0
		.amdhsa_float_round_mode_16_64 0
		.amdhsa_float_denorm_mode_32 3
		.amdhsa_float_denorm_mode_16_64 3
		.amdhsa_dx10_clamp 1
		.amdhsa_ieee_mode 1
		.amdhsa_fp16_overflow 0
		.amdhsa_tg_split 0
		.amdhsa_exception_fp_ieee_invalid_op 0
		.amdhsa_exception_fp_denorm_src 0
		.amdhsa_exception_fp_ieee_div_zero 0
		.amdhsa_exception_fp_ieee_overflow 0
		.amdhsa_exception_fp_ieee_underflow 0
		.amdhsa_exception_fp_ieee_inexact 0
		.amdhsa_exception_int_div_zero 0
	.end_amdhsa_kernel
	.section	.text._ZL26rocblas_trtri_small_kernelILi16EfPKfPfEv13rocblas_fill_17rocblas_diagonal_iT1_lillT2_lilli,"axG",@progbits,_ZL26rocblas_trtri_small_kernelILi16EfPKfPfEv13rocblas_fill_17rocblas_diagonal_iT1_lillT2_lilli,comdat
.Lfunc_end1:
	.size	_ZL26rocblas_trtri_small_kernelILi16EfPKfPfEv13rocblas_fill_17rocblas_diagonal_iT1_lillT2_lilli, .Lfunc_end1-_ZL26rocblas_trtri_small_kernelILi16EfPKfPfEv13rocblas_fill_17rocblas_diagonal_iT1_lillT2_lilli
                                        ; -- End function
	.set _ZL26rocblas_trtri_small_kernelILi16EfPKfPfEv13rocblas_fill_17rocblas_diagonal_iT1_lillT2_lilli.num_vgpr, 14
	.set _ZL26rocblas_trtri_small_kernelILi16EfPKfPfEv13rocblas_fill_17rocblas_diagonal_iT1_lillT2_lilli.num_agpr, 0
	.set _ZL26rocblas_trtri_small_kernelILi16EfPKfPfEv13rocblas_fill_17rocblas_diagonal_iT1_lillT2_lilli.numbered_sgpr, 47
	.set _ZL26rocblas_trtri_small_kernelILi16EfPKfPfEv13rocblas_fill_17rocblas_diagonal_iT1_lillT2_lilli.num_named_barrier, 0
	.set _ZL26rocblas_trtri_small_kernelILi16EfPKfPfEv13rocblas_fill_17rocblas_diagonal_iT1_lillT2_lilli.private_seg_size, 0
	.set _ZL26rocblas_trtri_small_kernelILi16EfPKfPfEv13rocblas_fill_17rocblas_diagonal_iT1_lillT2_lilli.uses_vcc, 1
	.set _ZL26rocblas_trtri_small_kernelILi16EfPKfPfEv13rocblas_fill_17rocblas_diagonal_iT1_lillT2_lilli.uses_flat_scratch, 0
	.set _ZL26rocblas_trtri_small_kernelILi16EfPKfPfEv13rocblas_fill_17rocblas_diagonal_iT1_lillT2_lilli.has_dyn_sized_stack, 0
	.set _ZL26rocblas_trtri_small_kernelILi16EfPKfPfEv13rocblas_fill_17rocblas_diagonal_iT1_lillT2_lilli.has_recursion, 0
	.set _ZL26rocblas_trtri_small_kernelILi16EfPKfPfEv13rocblas_fill_17rocblas_diagonal_iT1_lillT2_lilli.has_indirect_call, 0
	.section	.AMDGPU.csdata,"",@progbits
; Kernel info:
; codeLenInByte = 2268
; TotalNumSgprs: 53
; NumVgprs: 14
; NumAgprs: 0
; TotalNumVgprs: 14
; ScratchSize: 0
; MemoryBound: 0
; FloatMode: 240
; IeeeMode: 1
; LDSByteSize: 1024 bytes/workgroup (compile time only)
; SGPRBlocks: 6
; VGPRBlocks: 1
; NumSGPRsForWavesPerEU: 53
; NumVGPRsForWavesPerEU: 14
; AccumOffset: 16
; Occupancy: 8
; WaveLimiterHint : 0
; COMPUTE_PGM_RSRC2:SCRATCH_EN: 0
; COMPUTE_PGM_RSRC2:USER_SGPR: 2
; COMPUTE_PGM_RSRC2:TRAP_HANDLER: 0
; COMPUTE_PGM_RSRC2:TGID_X_EN: 1
; COMPUTE_PGM_RSRC2:TGID_Y_EN: 0
; COMPUTE_PGM_RSRC2:TGID_Z_EN: 1
; COMPUTE_PGM_RSRC2:TIDIG_COMP_CNT: 0
; COMPUTE_PGM_RSRC3_GFX90A:ACCUM_OFFSET: 3
; COMPUTE_PGM_RSRC3_GFX90A:TG_SPLIT: 0
	.section	.text._ZL29rocblas_trtri_diagonal_kernelILi16EfPKfPfEv13rocblas_fill_17rocblas_diagonal_iT1_lillT2_lilli,"axG",@progbits,_ZL29rocblas_trtri_diagonal_kernelILi16EfPKfPfEv13rocblas_fill_17rocblas_diagonal_iT1_lillT2_lilli,comdat
	.globl	_ZL29rocblas_trtri_diagonal_kernelILi16EfPKfPfEv13rocblas_fill_17rocblas_diagonal_iT1_lillT2_lilli ; -- Begin function _ZL29rocblas_trtri_diagonal_kernelILi16EfPKfPfEv13rocblas_fill_17rocblas_diagonal_iT1_lillT2_lilli
	.p2align	8
	.type	_ZL29rocblas_trtri_diagonal_kernelILi16EfPKfPfEv13rocblas_fill_17rocblas_diagonal_iT1_lillT2_lilli,@function
_ZL29rocblas_trtri_diagonal_kernelILi16EfPKfPfEv13rocblas_fill_17rocblas_diagonal_iT1_lillT2_lilli: ; @_ZL29rocblas_trtri_diagonal_kernelILi16EfPKfPfEv13rocblas_fill_17rocblas_diagonal_iT1_lillT2_lilli
; %bb.0:
	s_load_dwordx4 s[20:23], s[0:1], 0x0
	s_waitcnt lgkmcnt(0)
	s_ashr_i32 s4, s22, 31
	s_lshr_b32 s4, s4, 27
	s_add_i32 s4, s22, s4
	s_ashr_i32 s4, s4, 5
	v_cvt_f32_u32_e32 v1, s4
	s_sub_i32 s5, 0, s4
	v_rcp_iflag_f32_e32 v1, v1
	s_nop 0
	v_mul_f32_e32 v1, 0x4f7ffffe, v1
	v_cvt_u32_f32_e32 v1, v1
	s_nop 0
	v_readfirstlane_b32 s6, v1
	s_mul_i32 s5, s5, s6
	s_mul_hi_u32 s5, s6, s5
	s_add_i32 s6, s6, s5
	s_mul_hi_u32 s5, s2, s6
	s_mul_i32 s6, s5, s4
	s_sub_i32 s6, s2, s6
	s_add_i32 s7, s5, 1
	s_sub_i32 s8, s6, s4
	s_cmp_ge_u32 s6, s4
	s_cselect_b32 s5, s7, s5
	s_cselect_b32 s6, s8, s6
	s_add_i32 s7, s5, 1
	s_cmp_ge_u32 s6, s4
	s_cselect_b32 s42, s7, s5
	s_mul_i32 s4, s42, s4
	s_sub_i32 s2, s2, s4
	s_lshl_b32 s4, s2, 4
	s_cmp_eq_u32 s22, s4
	s_cbranch_scc1 .LBB2_114
; %bb.1:
	s_sub_i32 s34, s22, s4
	s_min_u32 s33, s34, 16
	s_lshl_b32 s14, s33, 1
	v_cmp_gt_u32_e64 s[6:7], s33, v0
	v_cmp_le_u32_e64 s[4:5], s33, v0
	v_cmp_gt_u32_e64 s[8:9], s14, v0
	v_cmp_le_u32_e32 vcc, s14, v0
	v_mov_b32_e32 v2, v0
	s_and_saveexec_b64 s[10:11], s[4:5]
	s_cbranch_execz .LBB2_7
; %bb.2:
                                        ; implicit-def: $vgpr2
	s_and_saveexec_b64 s[12:13], vcc
	s_xor_b64 s[12:13], exec, s[12:13]
; %bb.3:
	v_subrev_u32_e32 v2, s14, v0
; %bb.4:
	s_andn2_saveexec_b64 s[12:13], s[12:13]
; %bb.5:
	v_subrev_u32_e32 v2, s33, v0
; %bb.6:
	s_or_b64 exec, exec, s[12:13]
.LBB2_7:
	s_or_b64 exec, exec, s[10:11]
	s_load_dwordx4 s[24:27], s[0:1], 0x10
	s_load_dword s10, s[0:1], 0x20
	s_load_dwordx8 s[12:19], s[0:1], 0x28
	v_mov_b32_e32 v1, 0xc00
	v_cndmask_b32_e64 v1, 0, v1, s[8:9]
	v_mov_b32_e32 v3, 0x800
	v_cndmask_b32_e64 v12, v1, v3, s[6:7]
	s_waitcnt lgkmcnt(0)
	s_ashr_i32 s11, s10, 31
	s_mul_i32 s6, s13, s3
	s_mul_hi_u32 s7, s12, s3
	s_add_i32 s7, s7, s6
	s_mul_i32 s6, s12, s3
	s_lshl_b64 s[12:13], s[10:11], 5
	s_add_u32 s12, s12, 32
	s_addc_u32 s13, s13, 0
	s_mul_i32 s13, s13, s2
	s_mul_hi_u32 s22, s12, s2
	s_add_i32 s13, s22, s13
	s_mul_i32 s15, s15, s42
	s_mul_hi_u32 s22, s14, s42
	s_mul_i32 s12, s12, s2
	s_add_i32 s15, s22, s15
	s_mul_i32 s14, s14, s42
	s_and_saveexec_b64 s[22:23], vcc
	s_xor_b64 s[22:23], exec, s[22:23]
	s_cbranch_execz .LBB2_30
; %bb.8:
	s_mul_i32 s28, s33, 3
	v_cmp_gt_u32_e32 vcc, s28, v0
	s_and_saveexec_b64 s[28:29], vcc
	s_cbranch_execz .LBB2_29
; %bb.9:
	s_cmpk_eq_i32 s20, 0x7a
	s_mov_b64 s[30:31], -1
	s_cbranch_scc1 .LBB2_18
; %bb.10:
	v_ashrrev_i32_e32 v3, 31, v2
	s_cmp_lt_u32 s34, 2
	s_mov_b32 s36, s33
	s_cbranch_scc1 .LBB2_14
; %bb.11:
	s_lshl_b64 s[30:31], s[6:7], 2
	s_add_u32 s35, s24, s30
	s_addc_u32 s36, s25, s31
	s_lshl_b64 s[30:31], s[26:27], 2
	s_add_u32 s35, s35, s30
	s_addc_u32 s36, s36, s31
	;; [unrolled: 3-line block ×4, first 2 shown]
	s_mul_hi_i32 s31, s33, s10
	s_mul_i32 s30, s33, s10
	s_lshl_b64 s[30:31], s[30:31], 2
	s_add_u32 s30, s35, s30
	s_addc_u32 s31, s36, s31
	v_lshl_add_u64 v[4:5], v[2:3], 2, s[30:31]
	s_and_b32 s30, s33, 30
	v_lshl_add_u32 v1, v2, 2, v12
	s_mov_b32 s31, s10
	s_mov_b32 s35, s11
	;; [unrolled: 1-line block ×3, first 2 shown]
	s_add_i32 s37, s33, -1
	s_mov_b32 s38, s33
	s_mov_b32 s39, s30
.LBB2_12:                               ; =>This Inner Loop Header: Depth=1
	s_add_i32 s43, s38, -1
	s_add_i32 s46, s37, -1
	s_mul_i32 s41, s35, s46
	s_mul_hi_u32 s45, s31, s46
	s_mul_i32 s47, s11, s43
	s_mul_hi_u32 s48, s10, s43
	s_mul_i32 s44, s10, s43
	s_add_i32 s41, s45, s41
	s_add_i32 s45, s48, s47
	s_mul_i32 s40, s31, s46
	v_lshl_add_u64 v[6:7], s[44:45], 2, v[4:5]
	v_lshl_add_u64 v[8:9], s[40:41], 2, v[4:5]
	global_load_dword v10, v[6:7], off
	global_load_dword v11, v[8:9], off
	s_add_i32 s37, s37, -2
	s_add_i32 s38, s38, -2
	;; [unrolled: 1-line block ×3, first 2 shown]
	s_mul_i32 s43, s43, s33
	s_mul_i32 s46, s46, s36
	v_lshl_add_u32 v6, s43, 2, v1
	s_cmp_lg_u32 s39, 0
	v_lshl_add_u32 v7, s46, 2, v1
	s_waitcnt vmcnt(1)
	ds_write_b32 v6, v10
	s_waitcnt vmcnt(0)
	ds_write_b32 v7, v11
	s_cbranch_scc1 .LBB2_12
; %bb.13:
	s_and_b32 s36, s33, 1
	s_cmp_lg_u32 s33, s30
	s_cselect_b64 s[30:31], -1, 0
.LBB2_14:
	s_and_b64 vcc, exec, s[30:31]
	s_cbranch_vccz .LBB2_17
; %bb.15:
	s_add_i32 s30, s36, -1
	s_mul_i32 s31, s33, s30
	s_lshl_b32 s37, s33, 2
	s_add_i32 s35, s36, 1
	s_lshl_b32 s31, s31, 2
	s_sub_i32 s36, 0, s37
	s_lshl_b64 s[38:39], s[14:15], 2
	s_lshl_b64 s[40:41], s[6:7], 2
	s_add_u32 s40, s38, s40
	v_lshlrev_b32_e32 v1, 2, v2
	s_addc_u32 s41, s39, s41
	s_lshl_b64 s[38:39], s[12:13], 2
	v_add3_u32 v1, s31, v1, v12
	s_mov_b32 s31, 0
	s_add_u32 s38, s40, s38
	s_addc_u32 s39, s41, s39
	s_lshl_b64 s[30:31], s[30:31], 2
	s_add_u32 s30, s37, s30
	s_addc_u32 s31, 0, s31
	s_mul_i32 s37, s30, s11
	s_mul_hi_u32 s40, s30, s10
	s_add_i32 s37, s40, s37
	s_mul_i32 s31, s31, s10
	s_add_i32 s37, s37, s31
	s_mul_i32 s30, s30, s10
	s_add_u32 s38, s38, s30
	s_addc_u32 s37, s39, s37
	s_lshl_b64 s[30:31], s[26:27], 2
	s_add_u32 s30, s38, s30
	s_addc_u32 s31, s37, s31
	s_add_u32 s30, s24, s30
	s_addc_u32 s31, s25, s31
	v_lshl_add_u64 v[4:5], v[2:3], 2, s[30:31]
	s_lshl_b64 s[30:31], s[10:11], 2
	s_sub_u32 s30, 0, s30
	s_subb_u32 s31, 0, s31
.LBB2_16:                               ; =>This Inner Loop Header: Depth=1
	global_load_dword v3, v[4:5], off
	s_add_i32 s35, s35, -1
	v_lshl_add_u64 v[4:5], v[4:5], 0, s[30:31]
	s_cmp_gt_u32 s35, 1
	s_waitcnt vmcnt(0)
	ds_write_b32 v1, v3
	v_add_u32_e32 v1, s36, v1
	s_cbranch_scc1 .LBB2_16
.LBB2_17:
	s_mov_b64 s[30:31], 0
.LBB2_18:
	s_andn2_b64 vcc, exec, s[30:31]
	s_cbranch_vccnz .LBB2_29
; %bb.19:
	s_cmp_gt_u32 s34, 1
	s_cselect_b64 s[30:31], -1, 0
	s_cmp_eq_u32 s10, 1
	v_add_u32_e32 v6, s33, v2
	s_cselect_b64 s[34:35], -1, 0
	v_ashrrev_i32_e32 v7, 31, v6
	s_and_b64 s[30:31], s[30:31], s[34:35]
	s_and_b64 vcc, exec, s[30:31]
	v_lshlrev_b64 v[4:5], 2, v[6:7]
	s_cbranch_vccnz .LBB2_21
; %bb.20:
	s_lshl_b64 s[30:31], s[14:15], 2
	s_lshl_b64 s[34:35], s[6:7], 2
	s_add_u32 s30, s30, s34
	s_addc_u32 s31, s31, s35
	s_lshl_b64 s[34:35], s[12:13], 2
	s_lshl_b64 s[36:37], s[26:27], 2
	v_lshlrev_b64 v[6:7], 2, v[6:7]
	s_mov_b64 s[40:41], 0
	s_mov_b64 s[38:39], -1
	s_branch .LBB2_22
.LBB2_21:
	s_mov_b64 s[40:41], -1
	s_mov_b64 s[38:39], 0
                                        ; implicit-def: $sgpr30_sgpr31
                                        ; implicit-def: $sgpr34_sgpr35
                                        ; implicit-def: $sgpr36_sgpr37
                                        ; implicit-def: $vgpr6_vgpr7
.LBB2_22:
	s_mov_b32 s43, 0
	s_andn2_b64 vcc, exec, s[40:41]
	s_mov_b32 s40, 1
	s_cbranch_vccnz .LBB2_26
; %bb.23:
	s_and_b32 s43, s33, 30
	s_lshl_b64 s[30:31], s[14:15], 2
	s_lshl_b64 s[34:35], s[6:7], 2
	s_add_u32 s30, s30, s34
	s_addc_u32 s31, s31, s35
	s_lshl_b64 s[34:35], s[12:13], 2
	s_add_u32 s39, s30, s34
	s_addc_u32 s41, s31, s35
	;; [unrolled: 3-line block ×3, first 2 shown]
	s_add_u32 s44, s24, s39
	s_addc_u32 s45, s25, s41
	v_lshl_add_u32 v1, v2, 2, v12
	s_mov_b32 s38, s33
	v_lshl_add_u64 v[6:7], s[44:45], 0, v[4:5]
	s_mov_b32 s39, 0
	s_mov_b32 s41, s43
.LBB2_24:                               ; =>This Inner Loop Header: Depth=1
	global_load_dwordx2 v[8:9], v[6:7], off
	s_mul_i32 s44, s40, s38
	s_mul_i32 s45, s39, s33
	s_add_i32 s39, s39, 2
	s_add_i32 s40, s40, 2
	s_add_i32 s41, s41, -2
	v_lshl_add_u64 v[6:7], v[6:7], 0, 8
	v_lshl_add_u32 v3, s45, 2, v1
	s_cmp_lg_u32 s41, 0
	v_lshl_add_u32 v10, s44, 2, v1
	s_waitcnt vmcnt(0)
	ds_write_b32 v3, v8
	ds_write_b32 v10, v9
	s_cbranch_scc1 .LBB2_24
; %bb.25:
	s_cmp_lg_u32 s33, s43
	s_cselect_b64 s[38:39], -1, 0
	v_mov_b64_e32 v[6:7], v[4:5]
.LBB2_26:
	s_and_b64 vcc, exec, s[38:39]
	s_cbranch_vccz .LBB2_29
; %bb.27:
	s_mul_i32 s39, s43, s33
	s_lshl_b32 s39, s39, 2
	v_lshlrev_b32_e32 v1, 2, v2
	s_mul_hi_i32 s41, s10, s43
	s_mul_i32 s40, s10, s43
	s_sub_i32 s38, s33, s43
	v_add3_u32 v1, s39, v1, v12
	s_lshl_b32 s39, s33, 2
	s_lshl_b64 s[40:41], s[40:41], 2
	s_add_u32 s30, s30, s40
	s_addc_u32 s31, s31, s41
	s_add_u32 s30, s30, s34
	s_addc_u32 s31, s31, s35
	;; [unrolled: 2-line block ×4, first 2 shown]
	v_lshl_add_u64 v[4:5], s[30:31], 0, v[6:7]
	s_lshl_b64 s[30:31], s[10:11], 2
.LBB2_28:                               ; =>This Inner Loop Header: Depth=1
	global_load_dword v3, v[4:5], off
	s_add_i32 s38, s38, -1
	v_lshl_add_u64 v[4:5], v[4:5], 0, s[30:31]
	s_cmp_eq_u32 s38, 0
	s_waitcnt vmcnt(0)
	ds_write_b32 v1, v3
	v_add_u32_e32 v1, s39, v1
	s_cbranch_scc0 .LBB2_28
.LBB2_29:
	s_or_b64 exec, exec, s[28:29]
.LBB2_30:
	s_andn2_saveexec_b64 s[22:23], s[22:23]
	s_cbranch_execz .LBB2_44
; %bb.31:
	v_mov_b64_e32 v[4:5], 0
	s_and_saveexec_b64 s[28:29], s[4:5]
	s_cbranch_execnz .LBB2_34
; %bb.32:
	s_or_b64 exec, exec, s[28:29]
	s_cmpk_lg_i32 s20, 0x7a
	s_mov_b64 s[28:29], -1
	s_cbranch_scc1 .LBB2_35
.LBB2_33:
	s_and_b64 vcc, exec, s[28:29]
	s_cbranch_vccnz .LBB2_40
	s_branch .LBB2_44
.LBB2_34:
	s_add_u32 s30, s10, 1
	s_addc_u32 s31, s11, 0
	s_mul_i32 s31, s31, s33
	s_mul_hi_u32 s34, s30, s33
	s_add_i32 s31, s34, s31
	s_mul_i32 s30, s30, s33
	v_mov_b64_e32 v[4:5], s[30:31]
	s_or_b64 exec, exec, s[28:29]
	s_cmpk_lg_i32 s20, 0x7a
	s_mov_b64 s[28:29], -1
	s_cbranch_scc0 .LBB2_33
.LBB2_35:
	s_add_i32 s34, s33, -1
	s_lshl_b64 s[28:29], s[14:15], 2
	s_lshl_b64 s[30:31], s[6:7], 2
	s_add_u32 s30, s28, s30
	s_addc_u32 s31, s29, s31
	s_lshl_b64 s[28:29], s[12:13], 2
	s_add_u32 s30, s30, s28
	s_addc_u32 s31, s31, s29
	s_mul_i32 s28, s11, s34
	s_mul_hi_u32 s29, s10, s34
	s_add_i32 s29, s29, s28
	s_mul_i32 s28, s10, s34
	s_lshl_b64 s[28:29], s[28:29], 2
	s_add_u32 s30, s30, s28
	s_addc_u32 s31, s31, s29
	s_lshl_b64 s[28:29], s[26:27], 2
	s_add_u32 s28, s28, s30
	s_addc_u32 s29, s29, s31
	v_ashrrev_i32_e32 v3, 31, v2
	v_lshl_add_u64 v[6:7], v[4:5], 2, s[28:29]
	s_lshl_b64 s[28:29], s[10:11], 2
	v_sub_u32_e32 v1, s34, v2
	v_lshl_add_u64 v[6:7], v[2:3], 2, v[6:7]
	s_sub_u32 s28, 0, s28
	v_lshl_add_u32 v1, v1, 2, v12
	v_lshl_add_u64 v[6:7], s[24:25], 0, v[6:7]
	s_subb_u32 s29, 0, s29
	s_lshl_b32 s34, s33, 2
	s_mov_b32 s35, s33
	s_branch .LBB2_37
.LBB2_36:                               ;   in Loop: Header=BB2_37 Depth=1
	s_or_b64 exec, exec, s[30:31]
	s_waitcnt vmcnt(0)
	ds_write_b32 v1, v3
	v_lshl_add_u64 v[6:7], v[6:7], 0, s[28:29]
	s_cmp_lt_i32 s35, 1
	v_add_u32_e32 v1, s34, v1
	s_cbranch_scc1 .LBB2_39
.LBB2_37:                               ; =>This Inner Loop Header: Depth=1
	s_add_i32 s35, s35, -1
	v_cmp_ge_i32_e32 vcc, s35, v2
	v_mov_b32_e32 v3, 0
	s_and_saveexec_b64 s[30:31], vcc
	s_cbranch_execz .LBB2_36
; %bb.38:                               ;   in Loop: Header=BB2_37 Depth=1
	global_load_dword v3, v[6:7], off
	s_branch .LBB2_36
.LBB2_39:
	s_branch .LBB2_44
.LBB2_40:
	s_lshl_b64 s[14:15], s[14:15], 2
	s_lshl_b64 s[6:7], s[6:7], 2
	s_add_u32 s14, s14, s6
	s_addc_u32 s15, s15, s7
	s_lshl_b64 s[6:7], s[12:13], 2
	s_add_u32 s12, s14, s6
	s_addc_u32 s13, s15, s7
	;; [unrolled: 3-line block ×3, first 2 shown]
	v_ashrrev_i32_e32 v3, 31, v2
	v_lshl_add_u64 v[4:5], v[4:5], 2, s[6:7]
	v_lshl_add_u64 v[4:5], v[2:3], 2, v[4:5]
	v_lshl_add_u32 v1, v2, 2, v12
	v_lshl_add_u64 v[4:5], s[24:25], 0, v[4:5]
	s_lshl_b64 s[6:7], s[10:11], 2
	s_lshl_b32 s12, s33, 2
	s_mov_b32 s13, 0
	s_branch .LBB2_42
.LBB2_41:                               ;   in Loop: Header=BB2_42 Depth=1
	s_or_b64 exec, exec, s[10:11]
	s_add_i32 s13, s13, 1
	s_waitcnt vmcnt(0)
	ds_write_b32 v1, v3
	v_lshl_add_u64 v[4:5], v[4:5], 0, s[6:7]
	s_cmp_eq_u32 s33, s13
	v_add_u32_e32 v1, s12, v1
	s_cbranch_scc1 .LBB2_44
.LBB2_42:                               ; =>This Inner Loop Header: Depth=1
	v_cmp_le_i32_e32 vcc, s13, v2
	v_mov_b32_e32 v3, 0
	s_and_saveexec_b64 s[10:11], vcc
	s_cbranch_execz .LBB2_41
; %bb.43:                               ;   in Loop: Header=BB2_42 Depth=1
	global_load_dword v3, v[4:5], off
	s_branch .LBB2_41
.LBB2_44:
	s_or_b64 exec, exec, s[22:23]
	s_waitcnt lgkmcnt(0)
	s_barrier
	s_and_saveexec_b64 s[6:7], s[8:9]
	s_cbranch_execz .LBB2_50
; %bb.45:
	s_add_i32 s10, s33, 1
	v_mul_i32_i24_e32 v1, s10, v2
	s_cmpk_eq_i32 s21, 0x84
	v_lshl_add_u32 v1, v1, 2, v12
	v_mov_b32_e32 v4, 1.0
	s_cbranch_scc1 .LBB2_49
; %bb.46:
	ds_read_b32 v3, v1
	v_mov_b32_e32 v4, 1.0
	s_waitcnt lgkmcnt(0)
	v_cmp_neq_f32_e32 vcc, 0, v3
	s_and_saveexec_b64 s[10:11], vcc
	s_cbranch_execz .LBB2_48
; %bb.47:
	v_div_scale_f32 v4, s[12:13], v3, v3, 1.0
	v_rcp_f32_e32 v5, v4
	v_div_scale_f32 v6, vcc, 1.0, v3, 1.0
	v_fma_f32 v7, -v4, v5, 1.0
	v_fmac_f32_e32 v5, v7, v5
	v_mul_f32_e32 v7, v6, v5
	v_fma_f32 v8, -v4, v7, v6
	v_fmac_f32_e32 v7, v8, v5
	v_fma_f32 v4, -v4, v7, v6
	v_div_fmas_f32 v4, v4, v5, v7
	v_div_fixup_f32 v4, v4, v3, 1.0
.LBB2_48:
	s_or_b64 exec, exec, s[10:11]
.LBB2_49:
	ds_write_b32 v1, v4
.LBB2_50:
	s_or_b64 exec, exec, s[6:7]
	s_waitcnt lgkmcnt(0)
	s_barrier
	s_and_saveexec_b64 s[6:7], s[8:9]
	s_cbranch_execz .LBB2_62
; %bb.51:
	s_add_i32 s10, s33, 1
	v_lshlrev_b32_e32 v5, 2, v2
	v_mul_i32_i24_e32 v3, s10, v2
	s_lshl_b32 s12, s33, 2
	v_add_u32_e32 v1, v12, v5
	v_lshl_add_u32 v3, v3, 2, v12
	v_add_u32_e32 v4, 4, v12
	s_add_i32 s13, s12, 4
	v_add3_u32 v5, v5, s12, v12
	s_mov_b32 s14, 0
	s_branch .LBB2_53
.LBB2_52:                               ;   in Loop: Header=BB2_53 Depth=1
	v_add_u32_e32 v4, s13, v4
	s_cmp_eq_u32 s14, s33
	v_add_u32_e32 v5, s12, v5
	s_cbranch_scc1 .LBB2_62
.LBB2_53:                               ; =>This Loop Header: Depth=1
                                        ;     Child Loop BB2_58 Depth 2
	v_cmp_lt_i32_e32 vcc, s14, v2
	s_mul_i32 s15, s14, s33
	v_mov_b32_e32 v6, 0
	s_and_saveexec_b64 s[10:11], vcc
	s_cbranch_execz .LBB2_55
; %bb.54:                               ;   in Loop: Header=BB2_53 Depth=1
	s_lshl_b32 s21, s14, 2
	s_lshl_b32 s22, s15, 2
	s_add_i32 s21, s22, s21
	v_add_u32_e32 v6, s21, v12
	v_add_u32_e32 v7, s22, v1
	ds_read_b32 v7, v7
	ds_read_b32 v6, v6
	s_waitcnt lgkmcnt(0)
	v_fma_f32 v6, v7, v6, 0
.LBB2_55:                               ;   in Loop: Header=BB2_53 Depth=1
	s_or_b64 exec, exec, s[10:11]
	s_add_i32 s14, s14, 1
	s_cmp_ge_u32 s14, s33
	s_cbranch_scc1 .LBB2_52
; %bb.56:                               ;   in Loop: Header=BB2_53 Depth=1
	v_lshl_add_u32 v7, s15, 2, v1
	v_mov_b32_e32 v8, v5
	v_mov_b32_e32 v9, v4
	s_mov_b32 s15, s14
	s_branch .LBB2_58
.LBB2_57:                               ;   in Loop: Header=BB2_58 Depth=2
	s_or_b64 exec, exec, s[10:11]
	s_add_i32 s15, s15, 1
	v_add_u32_e32 v9, 4, v9
	s_cmp_eq_u32 s33, s15
	v_add_u32_e32 v8, s12, v8
	s_cbranch_scc1 .LBB2_52
.LBB2_58:                               ;   Parent Loop BB2_53 Depth=1
                                        ; =>  This Inner Loop Header: Depth=2
	v_cmp_eq_u32_e32 vcc, s15, v2
	s_and_saveexec_b64 s[10:11], vcc
	s_cbranch_execz .LBB2_60
; %bb.59:                               ;   in Loop: Header=BB2_58 Depth=2
	ds_read_b32 v10, v3
	s_waitcnt lgkmcnt(0)
	v_mul_f32_e64 v10, -v6, v10
	ds_write_b32 v7, v10
.LBB2_60:                               ;   in Loop: Header=BB2_58 Depth=2
	s_or_b64 exec, exec, s[10:11]
	v_cmp_lt_i32_e32 vcc, s15, v2
	s_and_saveexec_b64 s[10:11], vcc
	s_cbranch_execz .LBB2_57
; %bb.61:                               ;   in Loop: Header=BB2_58 Depth=2
	ds_read_b32 v10, v8
	ds_read_b32 v11, v9
	s_waitcnt lgkmcnt(0)
	v_fmac_f32_e32 v6, v10, v11
	s_branch .LBB2_57
.LBB2_62:
	s_or_b64 exec, exec, s[6:7]
	s_and_b32 s6, s33, 0xffff
	v_cvt_f32_u32_e32 v1, s6
	v_cvt_f32_ubyte0_e32 v3, v0
	s_cmpk_lg_i32 s20, 0x7a
	s_cselect_b64 s[20:21], -1, 0
	v_rcp_iflag_f32_e32 v4, v1
	s_mul_i32 s6, s33, s33
	v_cmp_gt_u32_e64 s[6:7], s6, v0
	s_mov_b64 s[10:11], -1
	v_mul_f32_e32 v4, v3, v4
	v_trunc_f32_e32 v4, v4
	v_cvt_u32_f32_e32 v5, v4
	v_fma_f32 v3, -v4, v1, v3
	v_cmp_ge_f32_e64 vcc, |v3|, v1
	s_waitcnt lgkmcnt(0)
	s_barrier
	v_addc_co_u32_e32 v1, vcc, 0, v5, vcc
	v_and_b32_e32 v4, 0xffff, v1
	v_mul_lo_u16_e32 v1, s33, v1
	v_sub_u16_e32 v3, v0, v1
	s_and_b64 vcc, exec, s[20:21]
	s_cbranch_vccz .LBB2_68
; %bb.63:
	s_and_saveexec_b64 s[10:11], s[6:7]
	s_cbranch_execz .LBB2_67
; %bb.64:
	v_lshlrev_b32_e32 v0, 6, v4
	v_lshlrev_b32_e32 v5, 2, v3
	v_sub_u32_e32 v6, 0xffc, v0
	v_mov_b32_e32 v1, 0
	s_mov_b32 s14, -1
	s_mov_b64 s[12:13], 0
.LBB2_65:                               ; =>This Inner Loop Header: Depth=1
	ds_read_b32 v7, v5
	ds_read_b32 v8, v6
	s_add_i32 s14, s14, 1
	v_cmp_ge_u32_e32 vcc, s14, v4
	v_add_u32_e32 v6, -4, v6
	v_add_u32_e32 v5, 64, v5
	s_or_b64 s[12:13], vcc, s[12:13]
	s_waitcnt lgkmcnt(0)
	v_fmac_f32_e32 v1, v7, v8
	s_andn2_b64 exec, exec, s[12:13]
	s_cbranch_execnz .LBB2_65
; %bb.66:
	s_or_b64 exec, exec, s[12:13]
	v_lshl_add_u32 v0, v3, 2, v0
	ds_write_b32 v0, v1 offset:1024
.LBB2_67:
	s_or_b64 exec, exec, s[10:11]
	s_mov_b64 s[10:11], 0
.LBB2_68:
	s_andn2_b64 vcc, exec, s[10:11]
	s_cbranch_vccnz .LBB2_78
; %bb.69:
	s_and_saveexec_b64 s[10:11], s[6:7]
	s_cbranch_execz .LBB2_77
; %bb.70:
	v_cmp_lt_u16_e32 vcc, 15, v4
	v_lshlrev_b32_e32 v0, 6, v4
	s_and_saveexec_b64 s[12:13], vcc
	s_xor_b64 s[12:13], exec, s[12:13]
; %bb.71:
	v_lshlrev_b32_e32 v0, 6, v4
; %bb.72:
	s_or_saveexec_b64 s[12:13], s[12:13]
	v_mov_b32_e32 v1, 0
	s_xor_b64 exec, exec, s[12:13]
	s_cbranch_execz .LBB2_76
; %bb.73:
	s_movk_i32 s14, 0x44
	v_mov_b32_e32 v1, 0x800
	v_add_u32_e32 v5, -1, v4
	v_mad_u32_u24 v6, v4, s14, v1
	v_lshl_add_u32 v7, v3, 2, v0
	v_mov_b32_e32 v1, 0
	s_mov_b64 s[14:15], 0
.LBB2_74:                               ; =>This Inner Loop Header: Depth=1
	ds_read_b32 v8, v7
	ds_read_b32 v9, v6
	v_add_u32_e32 v5, 1, v5
	v_cmp_lt_u32_e32 vcc, 14, v5
	v_add_u32_e32 v6, 4, v6
	v_add_u32_e32 v7, 64, v7
	s_or_b64 s[14:15], vcc, s[14:15]
	s_waitcnt lgkmcnt(0)
	v_fmac_f32_e32 v1, v8, v9
	s_andn2_b64 exec, exec, s[14:15]
	s_cbranch_execnz .LBB2_74
; %bb.75:
	s_or_b64 exec, exec, s[14:15]
.LBB2_76:
	s_or_b64 exec, exec, s[12:13]
	v_lshl_add_u32 v0, v3, 2, v0
	ds_write_b32 v0, v1 offset:1024
.LBB2_77:
	s_or_b64 exec, exec, s[10:11]
.LBB2_78:
	s_load_dword s10, s[0:1], 0x48
	s_load_dwordx4 s[12:15], s[0:1], 0x50
	s_waitcnt lgkmcnt(0)
	s_barrier
	s_ashr_i32 s11, s10, 31
	s_mul_i32 s1, s13, s3
	s_mul_hi_u32 s13, s12, s3
	s_mul_i32 s0, s12, s3
	s_add_i32 s1, s13, s1
	s_lshl_b64 s[12:13], s[0:1], 2
	s_add_u32 s3, s16, s12
	s_addc_u32 s22, s17, s13
	s_lshl_b64 s[0:1], s[18:19], 2
	s_add_u32 s24, s3, s0
	s_addc_u32 s25, s22, s1
	;; [unrolled: 3-line block ×3, first 2 shown]
	s_mul_i32 s22, s22, s2
	s_mul_hi_u32 s23, s3, s2
	s_add_i32 s23, s23, s22
	s_mul_i32 s22, s3, s2
	s_lshl_b64 s[2:3], s[22:23], 2
	s_add_u32 s24, s24, s2
	s_mul_i32 s15, s15, s42
	s_mul_hi_u32 s26, s14, s42
	s_addc_u32 s25, s25, s3
	s_add_i32 s15, s26, s15
	s_mul_i32 s14, s14, s42
	s_lshl_b64 s[14:15], s[14:15], 2
	s_add_u32 s24, s24, s14
	s_addc_u32 s25, s25, s15
	s_mov_b64 s[26:27], -1
	s_and_b64 vcc, exec, s[20:21]
	s_cbranch_vccnz .LBB2_81
; %bb.79:
	s_andn2_b64 vcc, exec, s[26:27]
	s_cbranch_vccz .LBB2_86
.LBB2_80:
	s_and_saveexec_b64 s[6:7], s[8:9]
	s_cbranch_execnz .LBB2_91
	s_branch .LBB2_114
.LBB2_81:
	s_and_saveexec_b64 s[26:27], s[6:7]
	s_cbranch_execz .LBB2_85
; %bb.82:
	v_mul_u32_u24_e32 v0, s33, v4
	v_lshlrev_b32_e32 v5, 2, v0
	v_lshlrev_b32_e32 v0, 2, v3
	s_movk_i32 s28, 0x400
	v_add3_u32 v6, v5, v0, s28
	s_lshl_b32 s28, s33, 2
	v_sub_u32_e32 v5, s28, v0
	v_mul_i32_i24_e32 v5, s33, v5
	v_sub_u32_e32 v5, v5, v0
	v_add_u32_e32 v1, -1, v3
	v_add_u32_e32 v7, 0x7fc, v5
	s_sub_i32 s30, 0, s28
	v_mov_b32_e32 v5, 0
	s_mov_b64 s[28:29], 0
.LBB2_83:                               ; =>This Inner Loop Header: Depth=1
	ds_read_b32 v8, v7
	ds_read_b32 v9, v6
	v_add_u32_e32 v1, 1, v1
	v_cmp_lt_u32_e32 vcc, 14, v1
	v_add_u32_e32 v6, 4, v6
	v_add_u32_e32 v7, s30, v7
	s_or_b64 s[28:29], vcc, s[28:29]
	s_waitcnt lgkmcnt(0)
	v_fma_f32 v5, -v8, v9, v5
	s_andn2_b64 exec, exec, s[28:29]
	s_cbranch_execnz .LBB2_83
; %bb.84:
	s_or_b64 exec, exec, s[28:29]
	s_mul_hi_i32 s29, s33, s10
	s_mul_i32 s28, s33, s10
	s_lshl_b64 s[28:29], s[28:29], 2
	s_add_u32 s28, s24, s28
	s_addc_u32 s29, s25, s29
	v_mov_b32_e32 v1, 0
	v_mad_i64_i32 v[6:7], s[30:31], v4, s10, 0
	v_lshl_add_u64 v[0:1], s[28:29], 0, v[0:1]
	v_lshl_add_u64 v[0:1], v[6:7], 2, v[0:1]
	global_store_dword v[0:1], v5, off
.LBB2_85:
	s_or_b64 exec, exec, s[26:27]
	s_cbranch_execnz .LBB2_80
.LBB2_86:
	s_and_saveexec_b64 s[26:27], s[6:7]
	s_cbranch_execz .LBB2_90
; %bb.87:
	v_mov_b32_e32 v0, 0xc00
	v_lshl_add_u32 v1, v3, 2, v0
	v_mul_u32_u24_e32 v0, s33, v4
	v_mov_b32_e32 v5, 0x400
	v_lshl_add_u32 v5, v0, 2, v5
	s_lshl_b32 s28, s33, 2
	v_mov_b32_e32 v0, 0
	s_mov_b32 s29, -1
	s_mov_b64 s[6:7], 0
.LBB2_88:                               ; =>This Inner Loop Header: Depth=1
	ds_read_b32 v6, v1
	ds_read_b32 v7, v5
	s_add_i32 s29, s29, 1
	v_cmp_ge_u32_e32 vcc, s29, v3
	v_add_u32_e32 v5, 4, v5
	v_add_u32_e32 v1, s28, v1
	s_or_b64 s[6:7], vcc, s[6:7]
	s_waitcnt lgkmcnt(0)
	v_fma_f32 v0, -v6, v7, v0
	s_andn2_b64 exec, exec, s[6:7]
	s_cbranch_execnz .LBB2_88
; %bb.89:
	s_or_b64 exec, exec, s[6:7]
	v_mad_i64_i32 v[4:5], s[6:7], v4, s10, 0
	v_lshl_add_u64 v[4:5], v[4:5], 2, s[24:25]
	v_add_lshl_u32 v6, s33, v3, 2
	v_mov_b32_e32 v7, 0
	v_lshl_add_u64 v[4:5], v[4:5], 0, v[6:7]
	global_store_dword v[4:5], v0, off
.LBB2_90:
	s_or_b64 exec, exec, s[26:27]
	s_and_saveexec_b64 s[6:7], s[8:9]
	s_cbranch_execz .LBB2_114
.LBB2_91:
	v_mov_b64_e32 v[0:1], 0
	s_and_saveexec_b64 s[6:7], s[4:5]
	s_cbranch_execnz .LBB2_94
; %bb.92:
	s_or_b64 exec, exec, s[6:7]
	s_mov_b64 s[4:5], -1
	s_and_b64 vcc, exec, s[20:21]
	s_cbranch_vccnz .LBB2_95
.LBB2_93:
	s_andn2_b64 vcc, exec, s[4:5]
	s_cbranch_vccz .LBB2_104
	s_branch .LBB2_114
.LBB2_94:
	s_add_u32 s4, s10, 1
	s_addc_u32 s5, s11, 0
	s_mul_i32 s5, s5, s33
	s_mul_hi_u32 s8, s4, s33
	s_add_i32 s5, s8, s5
	s_mul_i32 s4, s4, s33
	v_mov_b64_e32 v[0:1], s[4:5]
	s_or_b64 exec, exec, s[6:7]
	s_mov_b64 s[4:5], -1
	s_and_b64 vcc, exec, s[20:21]
	s_cbranch_vccz .LBB2_93
.LBB2_95:
	v_cmp_gt_i32_e32 vcc, s33, v2
	s_and_saveexec_b64 s[4:5], vcc
	s_cbranch_execz .LBB2_103
; %bb.96:
	s_add_i32 s20, s33, -1
	v_sub_u32_e32 v6, s33, v2
	v_ashrrev_i32_e32 v3, 31, v2
	v_cmp_lt_u32_e32 vcc, 1, v6
	s_mov_b64 s[8:9], -1
	v_mov_b32_e32 v8, s20
	s_and_saveexec_b64 s[6:7], vcc
	s_cbranch_execz .LBB2_100
; %bb.97:
	v_sub_u32_e32 v4, s20, v2
	v_lshl_add_u32 v8, v4, 2, v12
	v_lshl_add_u64 v[4:5], v[0:1], 2, s[24:25]
	v_and_b32_e32 v7, -2, v6
	v_lshl_add_u64 v[4:5], v[2:3], 2, v[4:5]
	s_mov_b32 s21, s20
	s_mov_b32 s24, s33
	;; [unrolled: 1-line block ×4, first 2 shown]
	s_add_i32 s27, s20, -1
	s_mov_b32 s28, s20
	s_mov_b64 s[8:9], 0
	v_mov_b32_e32 v9, v7
.LBB2_98:                               ; =>This Inner Loop Header: Depth=1
	s_sub_i32 s29, s20, s28
	s_sub_i32 s31, s21, s27
	s_mul_i32 s29, s29, s33
	s_mul_i32 s31, s31, s24
	v_lshl_add_u32 v10, s29, 2, v8
	s_ashr_i32 s35, s28, 31
	s_ashr_i32 s36, s27, 31
	v_lshl_add_u32 v11, s31, 2, v8
	ds_read_b32 v13, v10
	ds_read_b32 v16, v11
	s_mul_hi_u32 s37, s25, s27
	s_mul_hi_u32 s39, s10, s28
	s_mul_i32 s36, s25, s36
	s_mul_i32 s35, s10, s35
	s_mul_i32 s38, s26, s27
	s_mul_i32 s40, s11, s28
	v_add_u32_e32 v9, -2, v9
	s_add_i32 s29, s37, s36
	s_add_i32 s35, s39, s35
	s_mul_i32 s30, s25, s27
	s_mul_i32 s34, s10, s28
	s_add_i32 s27, s27, -2
	s_add_i32 s28, s28, -2
	v_cmp_eq_u32_e32 vcc, 0, v9
	s_add_i32 s31, s29, s38
	s_add_i32 s35, s35, s40
	v_lshl_add_u64 v[10:11], s[34:35], 2, v[4:5]
	s_or_b64 s[8:9], vcc, s[8:9]
	v_lshl_add_u64 v[14:15], s[30:31], 2, v[4:5]
	s_waitcnt lgkmcnt(1)
	global_store_dword v[10:11], v13, off
	s_waitcnt lgkmcnt(0)
	global_store_dword v[14:15], v16, off
	s_andn2_b64 exec, exec, s[8:9]
	s_cbranch_execnz .LBB2_98
; %bb.99:
	s_or_b64 exec, exec, s[8:9]
	v_cmp_ne_u32_e32 vcc, v6, v7
	v_sub_u32_e32 v8, s20, v7
	s_orn2_b64 s[8:9], vcc, exec
.LBB2_100:
	s_or_b64 exec, exec, s[6:7]
	s_and_b64 exec, exec, s[8:9]
	s_cbranch_execz .LBB2_103
; %bb.101:
	v_mad_i64_i32 v[4:5], s[6:7], v8, s10, 0
	s_lshl_b64 s[6:7], s[22:23], 2
	s_add_u32 s6, s6, s12
	s_addc_u32 s7, s7, s13
	s_add_u32 s6, s6, s14
	s_addc_u32 s7, s7, s15
	v_lshl_add_u64 v[4:5], v[4:5], 2, s[6:7]
	v_lshl_add_u64 v[4:5], v[0:1], 2, v[4:5]
	s_lshl_b64 s[8:9], s[10:11], 2
	v_lshl_add_u64 v[4:5], s[18:19], 2, v[4:5]
	s_sub_u32 s8, 0, s8
	v_lshl_add_u64 v[4:5], v[2:3], 2, v[4:5]
	s_subb_u32 s9, 0, s9
	s_lshl_b32 s18, s33, 2
	v_lshlrev_b32_e32 v3, 2, v8
	v_sub_u32_e32 v3, s18, v3
	v_mul_lo_u32 v3, s33, v3
	v_lshlrev_b32_e32 v7, 2, v2
	v_sub_u32_e32 v3, v3, v7
	v_add_u32_e32 v6, 1, v8
	v_lshl_add_u64 v[4:5], s[16:17], 0, v[4:5]
	s_mov_b64 s[6:7], 0
	v_add3_u32 v3, v3, v12, -4
.LBB2_102:                              ; =>This Inner Loop Header: Depth=1
	ds_read_b32 v7, v3
	v_add_u32_e32 v6, -1, v6
	v_cmp_le_i32_e32 vcc, v6, v2
	v_add_u32_e32 v3, s18, v3
	s_or_b64 s[6:7], vcc, s[6:7]
	s_waitcnt lgkmcnt(0)
	global_store_dword v[4:5], v7, off
	v_lshl_add_u64 v[4:5], v[4:5], 0, s[8:9]
	s_andn2_b64 exec, exec, s[6:7]
	s_cbranch_execnz .LBB2_102
.LBB2_103:
	s_or_b64 exec, exec, s[4:5]
	s_cbranch_execnz .LBB2_114
.LBB2_104:
	v_cmp_lt_i32_e32 vcc, -1, v2
	s_and_b64 exec, exec, vcc
	s_cbranch_execz .LBB2_114
; %bb.105:
	s_cmp_lg_u32 s10, 1
	v_mov_b32_e32 v3, 0
	v_cmp_eq_u32_e32 vcc, 0, v2
	s_cselect_b64 s[4:5], -1, 0
	s_or_b64 s[6:7], vcc, s[4:5]
	s_mov_b64 s[4:5], 0
	v_lshlrev_b64 v[4:5], 2, v[0:1]
	v_lshlrev_b64 v[6:7], 2, v[2:3]
                                        ; implicit-def: $sgpr8_sgpr9
	s_and_saveexec_b64 s[18:19], s[6:7]
	s_xor_b64 s[6:7], exec, s[18:19]
; %bb.106:
	s_add_u32 s8, s14, s12
	s_mov_b64 s[4:5], exec
	s_addc_u32 s9, s15, s13
	v_lshlrev_b64 v[4:5], 2, v[0:1]
	v_lshlrev_b64 v[6:7], 2, v[2:3]
; %bb.107:
	s_or_saveexec_b64 s[6:7], s[6:7]
	v_add_u32_e32 v13, 1, v2
	v_mov_b64_e32 v[0:1], s[8:9]
	v_mov_b64_e32 v[8:9], s[2:3]
	;; [unrolled: 1-line block ×3, first 2 shown]
	s_xor_b64 exec, exec, s[6:7]
	s_cbranch_execz .LBB2_111
; %bb.108:
	s_add_u32 s8, s14, s12
	s_addc_u32 s9, s15, s13
	s_add_u32 s12, s8, s2
	s_addc_u32 s13, s9, s3
	;; [unrolled: 2-line block ×3, first 2 shown]
	v_lshl_add_u64 v[0:1], s[12:13], 0, v[4:5]
	v_and_b32_e32 v3, 0x7ffffffe, v13
	v_lshl_add_u64 v[0:1], v[0:1], 0, v[6:7]
	v_lshl_add_u32 v8, v2, 2, v12
	s_mov_b32 s18, s33
	v_lshl_add_u64 v[0:1], s[16:17], 0, v[0:1]
	s_mov_b32 s14, 1
	s_mov_b32 s15, 0
	s_mov_b64 s[12:13], 0
	v_mov_b32_e32 v9, v3
.LBB2_109:                              ; =>This Inner Loop Header: Depth=1
	s_mul_i32 s19, s14, s18
	s_mul_i32 s20, s15, s33
	v_lshl_add_u32 v10, s20, 2, v8
	v_lshl_add_u32 v11, s19, 2, v8
	ds_read_b32 v10, v10
	ds_read_b32 v11, v11
	v_add_u32_e32 v9, -2, v9
	s_add_i32 s15, s15, 2
	s_add_i32 s14, s14, 2
	v_cmp_eq_u32_e32 vcc, 0, v9
	s_or_b64 s[12:13], vcc, s[12:13]
	s_waitcnt lgkmcnt(0)
	global_store_dwordx2 v[0:1], v[10:11], off
	v_lshl_add_u64 v[0:1], v[0:1], 0, 8
	s_andn2_b64 exec, exec, s[12:13]
	s_cbranch_execnz .LBB2_109
; %bb.110:
	s_or_b64 exec, exec, s[12:13]
	v_cmp_ne_u32_e32 vcc, v13, v3
	v_mov_b64_e32 v[8:9], s[2:3]
	v_mov_b64_e32 v[10:11], s[0:1]
	s_andn2_b64 s[0:1], s[4:5], exec
	s_and_b64 s[2:3], vcc, exec
	v_mov_b64_e32 v[0:1], s[8:9]
	s_or_b64 s[4:5], s[0:1], s[2:3]
.LBB2_111:
	s_or_b64 exec, exec, s[6:7]
	s_and_b64 exec, exec, s[4:5]
	s_cbranch_execz .LBB2_114
; %bb.112:
	v_mad_i64_i32 v[14:15], s[0:1], s10, v3, 0
	v_lshl_add_u64 v[0:1], v[14:15], 2, v[0:1]
	v_lshl_add_u64 v[0:1], v[0:1], 0, v[8:9]
	;; [unrolled: 1-line block ×3, first 2 shown]
	v_sub_u32_e32 v13, v13, v3
	v_lshl_add_u64 v[0:1], v[0:1], 0, v[10:11]
	v_mul_lo_u32 v3, v3, s33
	v_lshl_add_u64 v[0:1], v[0:1], 0, v[6:7]
	v_lshlrev_b32_e32 v3, 2, v3
	v_lshlrev_b32_e32 v2, 2, v2
	v_lshl_add_u64 v[0:1], s[16:17], 0, v[0:1]
	s_lshl_b64 s[0:1], s[10:11], 2
	v_add3_u32 v2, v3, v2, v12
	s_lshl_b32 s4, s33, 2
	s_mov_b64 s[2:3], 0
.LBB2_113:                              ; =>This Inner Loop Header: Depth=1
	ds_read_b32 v3, v2
	v_add_u32_e32 v13, -1, v13
	v_cmp_eq_u32_e32 vcc, 0, v13
	v_add_u32_e32 v2, s4, v2
	s_or_b64 s[2:3], vcc, s[2:3]
	s_waitcnt lgkmcnt(0)
	global_store_dword v[0:1], v3, off
	v_lshl_add_u64 v[0:1], v[0:1], 0, s[0:1]
	s_andn2_b64 exec, exec, s[2:3]
	s_cbranch_execnz .LBB2_113
.LBB2_114:
	s_endpgm
	.section	.rodata,"a",@progbits
	.p2align	6, 0x0
	.amdhsa_kernel _ZL29rocblas_trtri_diagonal_kernelILi16EfPKfPfEv13rocblas_fill_17rocblas_diagonal_iT1_lillT2_lilli
		.amdhsa_group_segment_fixed_size 4096
		.amdhsa_private_segment_fixed_size 0
		.amdhsa_kernarg_size 100
		.amdhsa_user_sgpr_count 2
		.amdhsa_user_sgpr_dispatch_ptr 0
		.amdhsa_user_sgpr_queue_ptr 0
		.amdhsa_user_sgpr_kernarg_segment_ptr 1
		.amdhsa_user_sgpr_dispatch_id 0
		.amdhsa_user_sgpr_kernarg_preload_length 0
		.amdhsa_user_sgpr_kernarg_preload_offset 0
		.amdhsa_user_sgpr_private_segment_size 0
		.amdhsa_uses_dynamic_stack 0
		.amdhsa_enable_private_segment 0
		.amdhsa_system_sgpr_workgroup_id_x 1
		.amdhsa_system_sgpr_workgroup_id_y 0
		.amdhsa_system_sgpr_workgroup_id_z 1
		.amdhsa_system_sgpr_workgroup_info 0
		.amdhsa_system_vgpr_workitem_id 0
		.amdhsa_next_free_vgpr 17
		.amdhsa_next_free_sgpr 49
		.amdhsa_accum_offset 20
		.amdhsa_reserve_vcc 1
		.amdhsa_float_round_mode_32 0
		.amdhsa_float_round_mode_16_64 0
		.amdhsa_float_denorm_mode_32 3
		.amdhsa_float_denorm_mode_16_64 3
		.amdhsa_dx10_clamp 1
		.amdhsa_ieee_mode 1
		.amdhsa_fp16_overflow 0
		.amdhsa_tg_split 0
		.amdhsa_exception_fp_ieee_invalid_op 0
		.amdhsa_exception_fp_denorm_src 0
		.amdhsa_exception_fp_ieee_div_zero 0
		.amdhsa_exception_fp_ieee_overflow 0
		.amdhsa_exception_fp_ieee_underflow 0
		.amdhsa_exception_fp_ieee_inexact 0
		.amdhsa_exception_int_div_zero 0
	.end_amdhsa_kernel
	.section	.text._ZL29rocblas_trtri_diagonal_kernelILi16EfPKfPfEv13rocblas_fill_17rocblas_diagonal_iT1_lillT2_lilli,"axG",@progbits,_ZL29rocblas_trtri_diagonal_kernelILi16EfPKfPfEv13rocblas_fill_17rocblas_diagonal_iT1_lillT2_lilli,comdat
.Lfunc_end2:
	.size	_ZL29rocblas_trtri_diagonal_kernelILi16EfPKfPfEv13rocblas_fill_17rocblas_diagonal_iT1_lillT2_lilli, .Lfunc_end2-_ZL29rocblas_trtri_diagonal_kernelILi16EfPKfPfEv13rocblas_fill_17rocblas_diagonal_iT1_lillT2_lilli
                                        ; -- End function
	.set _ZL29rocblas_trtri_diagonal_kernelILi16EfPKfPfEv13rocblas_fill_17rocblas_diagonal_iT1_lillT2_lilli.num_vgpr, 17
	.set _ZL29rocblas_trtri_diagonal_kernelILi16EfPKfPfEv13rocblas_fill_17rocblas_diagonal_iT1_lillT2_lilli.num_agpr, 0
	.set _ZL29rocblas_trtri_diagonal_kernelILi16EfPKfPfEv13rocblas_fill_17rocblas_diagonal_iT1_lillT2_lilli.numbered_sgpr, 49
	.set _ZL29rocblas_trtri_diagonal_kernelILi16EfPKfPfEv13rocblas_fill_17rocblas_diagonal_iT1_lillT2_lilli.num_named_barrier, 0
	.set _ZL29rocblas_trtri_diagonal_kernelILi16EfPKfPfEv13rocblas_fill_17rocblas_diagonal_iT1_lillT2_lilli.private_seg_size, 0
	.set _ZL29rocblas_trtri_diagonal_kernelILi16EfPKfPfEv13rocblas_fill_17rocblas_diagonal_iT1_lillT2_lilli.uses_vcc, 1
	.set _ZL29rocblas_trtri_diagonal_kernelILi16EfPKfPfEv13rocblas_fill_17rocblas_diagonal_iT1_lillT2_lilli.uses_flat_scratch, 0
	.set _ZL29rocblas_trtri_diagonal_kernelILi16EfPKfPfEv13rocblas_fill_17rocblas_diagonal_iT1_lillT2_lilli.has_dyn_sized_stack, 0
	.set _ZL29rocblas_trtri_diagonal_kernelILi16EfPKfPfEv13rocblas_fill_17rocblas_diagonal_iT1_lillT2_lilli.has_recursion, 0
	.set _ZL29rocblas_trtri_diagonal_kernelILi16EfPKfPfEv13rocblas_fill_17rocblas_diagonal_iT1_lillT2_lilli.has_indirect_call, 0
	.section	.AMDGPU.csdata,"",@progbits
; Kernel info:
; codeLenInByte = 4228
; TotalNumSgprs: 55
; NumVgprs: 17
; NumAgprs: 0
; TotalNumVgprs: 17
; ScratchSize: 0
; MemoryBound: 0
; FloatMode: 240
; IeeeMode: 1
; LDSByteSize: 4096 bytes/workgroup (compile time only)
; SGPRBlocks: 6
; VGPRBlocks: 2
; NumSGPRsForWavesPerEU: 55
; NumVGPRsForWavesPerEU: 17
; AccumOffset: 20
; Occupancy: 8
; WaveLimiterHint : 0
; COMPUTE_PGM_RSRC2:SCRATCH_EN: 0
; COMPUTE_PGM_RSRC2:USER_SGPR: 2
; COMPUTE_PGM_RSRC2:TRAP_HANDLER: 0
; COMPUTE_PGM_RSRC2:TGID_X_EN: 1
; COMPUTE_PGM_RSRC2:TGID_Y_EN: 0
; COMPUTE_PGM_RSRC2:TGID_Z_EN: 1
; COMPUTE_PGM_RSRC2:TIDIG_COMP_CNT: 0
; COMPUTE_PGM_RSRC3_GFX90A:ACCUM_OFFSET: 4
; COMPUTE_PGM_RSRC3_GFX90A:TG_SPLIT: 0
	.section	.text._ZL30rocblas_trtri_remainder_kernelILi16EfPKfPfEv13rocblas_fill_17rocblas_diagonal_iT1_lillT2_lilli,"axG",@progbits,_ZL30rocblas_trtri_remainder_kernelILi16EfPKfPfEv13rocblas_fill_17rocblas_diagonal_iT1_lillT2_lilli,comdat
	.globl	_ZL30rocblas_trtri_remainder_kernelILi16EfPKfPfEv13rocblas_fill_17rocblas_diagonal_iT1_lillT2_lilli ; -- Begin function _ZL30rocblas_trtri_remainder_kernelILi16EfPKfPfEv13rocblas_fill_17rocblas_diagonal_iT1_lillT2_lilli
	.p2align	8
	.type	_ZL30rocblas_trtri_remainder_kernelILi16EfPKfPfEv13rocblas_fill_17rocblas_diagonal_iT1_lillT2_lilli,@function
_ZL30rocblas_trtri_remainder_kernelILi16EfPKfPfEv13rocblas_fill_17rocblas_diagonal_iT1_lillT2_lilli: ; @_ZL30rocblas_trtri_remainder_kernelILi16EfPKfPfEv13rocblas_fill_17rocblas_diagonal_iT1_lillT2_lilli
; %bb.0:
	s_load_dwordx4 s[16:19], s[0:1], 0x0
	s_waitcnt lgkmcnt(0)
	s_cmp_lt_i32 s18, 1
	s_cbranch_scc1 .LBB3_62
; %bb.1:
	s_load_dwordx8 s[8:15], s[0:1], 0x28
	v_cmp_le_u32_e64 s[4:5], s18, v0
	v_cmp_gt_u32_e64 s[6:7], s18, v0
	s_and_saveexec_b64 s[24:25], s[6:7]
	s_cbranch_execz .LBB3_22
; %bb.2:
	s_load_dwordx4 s[20:23], s[0:1], 0x10
	s_load_dword s26, s[0:1], 0x20
	s_waitcnt lgkmcnt(0)
	s_mul_i32 s9, s9, s3
	s_mul_hi_u32 s19, s8, s3
	s_add_i32 s9, s19, s9
	s_mul_i32 s8, s8, s3
	s_lshl_b64 s[28:29], s[8:9], 2
	s_add_u32 s19, s20, s28
	s_addc_u32 s27, s21, s29
	s_lshl_b64 s[8:9], s[22:23], 2
	s_add_u32 s19, s19, s8
	s_mul_i32 s11, s11, s2
	s_mul_hi_u32 s22, s10, s2
	s_addc_u32 s23, s27, s9
	s_add_i32 s11, s22, s11
	s_mul_i32 s10, s10, s2
	s_lshl_b64 s[10:11], s[10:11], 2
	s_add_u32 s22, s19, s10
	s_addc_u32 s23, s23, s11
	s_cmpk_lg_i32 s16, 0x7a
	s_mov_b64 s[30:31], -1
	s_cbranch_scc0 .LBB3_11
; %bb.3:
	s_add_i32 s19, s18, -1
	v_sub_u32_e32 v1, s18, v0
	v_mov_b32_e32 v3, 0
	s_ashr_i32 s27, s26, 31
	v_cmp_lt_u32_e32 vcc, 1, v1
	s_mov_b64 s[34:35], -1
	v_mov_b32_e32 v2, s19
	s_and_saveexec_b64 s[30:31], vcc
	s_cbranch_execz .LBB3_7
; %bb.4:
	v_sub_u32_e32 v4, s19, v0
	v_lshlrev_b32_e32 v2, 2, v0
	v_lshlrev_b32_e32 v5, 2, v4
	v_and_b32_e32 v4, -2, v1
	v_lshl_add_u64 v[2:3], s[22:23], 0, v[2:3]
	s_mov_b32 s33, s19
	s_mov_b32 s36, s26
	;; [unrolled: 1-line block ×4, first 2 shown]
	s_add_i32 s39, s19, -1
	s_mov_b32 s40, s19
	s_mov_b64 s[34:35], 0
	v_mov_b32_e32 v6, v4
.LBB3_5:                                ; =>This Inner Loop Header: Depth=1
	s_mul_i32 s45, s27, s40
	s_mul_hi_u32 s46, s26, s40
	s_mul_i32 s41, s37, s39
	s_mul_hi_u32 s43, s36, s39
	s_mul_i32 s44, s26, s40
	s_add_i32 s45, s46, s45
	s_mul_i32 s42, s36, s39
	s_add_i32 s43, s43, s41
	v_lshl_add_u64 v[8:9], s[44:45], 2, v[2:3]
	v_lshl_add_u64 v[10:11], s[42:43], 2, v[2:3]
	global_load_dword v7, v[8:9], off
	global_load_dword v12, v[10:11], off
	s_sub_i32 s41, s19, s40
	v_add_u32_e32 v6, -2, v6
	s_sub_i32 s42, s33, s39
	s_add_i32 s39, s39, -2
	s_add_i32 s40, s40, -2
	s_mul_i32 s41, s41, s18
	v_cmp_eq_u32_e32 vcc, 0, v6
	s_mul_i32 s42, s42, s38
	v_lshl_add_u32 v8, s41, 2, v5
	s_or_b64 s[34:35], vcc, s[34:35]
	v_lshl_add_u32 v9, s42, 2, v5
	s_waitcnt vmcnt(1)
	ds_write_b32 v8, v7
	s_waitcnt vmcnt(0)
	ds_write_b32 v9, v12
	s_andn2_b64 exec, exec, s[34:35]
	s_cbranch_execnz .LBB3_5
; %bb.6:
	s_or_b64 exec, exec, s[34:35]
	v_cmp_ne_u32_e32 vcc, v1, v4
	v_sub_u32_e32 v2, s19, v4
	s_orn2_b64 s[34:35], vcc, exec
.LBB3_7:
	s_or_b64 exec, exec, s[30:31]
	s_and_saveexec_b64 s[30:31], s[34:35]
	s_cbranch_execz .LBB3_10
; %bb.8:
	s_lshl_b32 s19, s18, 2
	v_lshlrev_b32_e32 v3, 2, v2
	v_sub_u32_e32 v3, s19, v3
	v_mul_lo_u32 v3, s18, v3
	v_lshlrev_b32_e32 v6, 2, v0
	v_mad_u64_u32 v[8:9], s[34:35], s26, v2, 0
	v_sub_u32_e32 v3, v3, v6
	s_add_u32 s33, s10, s28
	v_mov_b32_e32 v10, v9
	v_add_u32_e32 v1, 1, v2
	v_add_u32_e32 v4, -4, v3
	s_addc_u32 s36, s11, s29
	v_mad_u64_u32 v[2:3], s[34:35], s27, v2, v[10:11]
	s_add_u32 s34, s8, s33
	v_mov_b32_e32 v9, v2
	s_addc_u32 s35, s9, s36
	v_lshl_add_u64 v[2:3], v[8:9], 2, s[34:35]
	v_mov_b32_e32 v7, 0
	s_lshl_b64 s[36:37], s[26:27], 2
	v_lshl_add_u64 v[2:3], v[2:3], 0, v[6:7]
	s_sub_u32 s36, 0, s36
	v_lshl_add_u64 v[2:3], s[20:21], 0, v[2:3]
	s_mov_b64 s[34:35], 0
	s_subb_u32 s37, 0, s37
.LBB3_9:                                ; =>This Inner Loop Header: Depth=1
	global_load_dword v5, v[2:3], off
	v_add_u32_e32 v1, -1, v1
	v_cmp_le_u32_e32 vcc, v1, v0
	v_lshl_add_u64 v[2:3], v[2:3], 0, s[36:37]
	s_or_b64 s[34:35], vcc, s[34:35]
	s_waitcnt vmcnt(0)
	ds_write_b32 v4, v5
	v_add_u32_e32 v4, s19, v4
	s_andn2_b64 exec, exec, s[34:35]
	s_cbranch_execnz .LBB3_9
.LBB3_10:
	s_or_b64 exec, exec, s[30:31]
	s_mov_b64 s[30:31], 0
.LBB3_11:
	s_andn2_b64 vcc, exec, s[30:31]
	s_cbranch_vccnz .LBB3_22
; %bb.12:
	v_mov_b32_e32 v3, 0
	v_add_u32_e32 v1, 1, v0
	v_cmp_gt_u32_e64 s[30:31], 3, v0
	v_cmp_lt_u32_e32 vcc, 2, v0
	s_and_saveexec_b64 s[34:35], vcc
	s_cbranch_execz .LBB3_19
; %bb.13:
	s_cmp_eq_u32 s26, 1
	s_cselect_b64 s[36:37], -1, 0
	s_cmp_eq_u32 s18, 1
	s_cselect_b64 s[38:39], -1, 0
	s_and_b64 s[36:37], s[36:37], s[38:39]
	s_and_b64 vcc, exec, s[36:37]
	s_cbranch_vccz .LBB3_17
; %bb.14:
	v_lshlrev_b32_e32 v2, 2, v0
	v_mov_b32_e32 v3, 0
	v_lshl_add_u64 v[4:5], s[22:23], 0, v[2:3]
	v_and_b32_e32 v3, 0x7fe, v1
	s_mov_b64 s[22:23], 0
	v_mov_b32_e32 v6, v3
.LBB3_15:                               ; =>This Inner Loop Header: Depth=1
	global_load_dwordx2 v[8:9], v[4:5], off
	v_add_u32_e32 v6, -2, v6
	v_cmp_eq_u32_e32 vcc, 0, v6
	v_lshl_add_u64 v[4:5], v[4:5], 0, 8
	s_or_b64 s[22:23], vcc, s[22:23]
	s_waitcnt vmcnt(0)
	ds_write2_b32 v2, v8, v9 offset1:1
	v_add_u32_e32 v2, 8, v2
	s_andn2_b64 exec, exec, s[22:23]
	s_cbranch_execnz .LBB3_15
; %bb.16:
	s_or_b64 exec, exec, s[22:23]
	v_cmp_ne_u32_e64 s[22:23], v1, v3
	s_branch .LBB3_18
.LBB3_17:
	s_mov_b64 s[22:23], -1
	v_mov_b32_e32 v3, 0
.LBB3_18:
	s_andn2_b64 s[30:31], s[30:31], exec
	s_and_b64 s[22:23], s[22:23], exec
	s_or_b64 s[30:31], s[30:31], s[22:23]
.LBB3_19:
	s_or_b64 exec, exec, s[34:35]
	s_and_b64 exec, exec, s[30:31]
	s_cbranch_execz .LBB3_22
; %bb.20:
	s_ashr_i32 s27, s26, 31
	s_lshl_b32 s19, s18, 2
	s_add_u32 s22, s10, s28
	s_addc_u32 s23, s11, s29
	s_add_u32 s8, s8, s22
	v_mad_i64_i32 v[6:7], s[10:11], s26, v3, 0
	s_addc_u32 s9, s9, s23
	v_sub_u32_e32 v1, v1, v3
	v_mul_lo_u32 v4, v3, s18
	v_lshlrev_b32_e32 v2, 2, v0
	v_lshl_add_u64 v[6:7], v[6:7], 2, s[8:9]
	v_mov_b32_e32 v3, 0
	v_lshl_add_u32 v4, v4, 2, v2
	v_lshl_add_u64 v[2:3], v[6:7], 0, v[2:3]
	v_lshl_add_u64 v[2:3], s[20:21], 0, v[2:3]
	s_lshl_b64 s[8:9], s[26:27], 2
	s_mov_b64 s[10:11], 0
.LBB3_21:                               ; =>This Inner Loop Header: Depth=1
	global_load_dword v5, v[2:3], off
	v_add_u32_e32 v1, -1, v1
	v_cmp_eq_u32_e32 vcc, 0, v1
	v_lshl_add_u64 v[2:3], v[2:3], 0, s[8:9]
	s_or_b64 s[10:11], vcc, s[10:11]
	s_waitcnt vmcnt(0)
	ds_write_b32 v4, v5
	v_add_u32_e32 v4, s19, v4
	s_andn2_b64 exec, exec, s[10:11]
	s_cbranch_execnz .LBB3_21
.LBB3_22:
	s_or_b64 exec, exec, s[24:25]
	s_waitcnt lgkmcnt(0)
	s_barrier
                                        ; implicit-def: $vgpr4
	s_and_saveexec_b64 s[8:9], s[4:5]
	s_xor_b64 s[4:5], exec, s[8:9]
; %bb.23:
	v_mad_u64_u32 v[4:5], s[8:9], v0, s18, v[0:1]
; %bb.24:
	s_andn2_saveexec_b64 s[4:5], s[4:5]
	s_cbranch_execz .LBB3_30
; %bb.25:
	v_mad_u64_u32 v[4:5], s[8:9], v0, s18, v[0:1]
	s_cmpk_eq_i32 s17, 0x84
	v_lshlrev_b32_e32 v1, 2, v4
	v_mov_b32_e32 v3, 1.0
	s_cbranch_scc1 .LBB3_29
; %bb.26:
	ds_read_b32 v2, v1
	v_mov_b32_e32 v3, 1.0
	s_waitcnt lgkmcnt(0)
	v_cmp_neq_f32_e32 vcc, 0, v2
	s_and_saveexec_b64 s[8:9], vcc
	s_cbranch_execz .LBB3_28
; %bb.27:
	v_div_scale_f32 v3, s[10:11], v2, v2, 1.0
	v_rcp_f32_e32 v5, v3
	v_div_scale_f32 v6, vcc, 1.0, v2, 1.0
	v_fma_f32 v7, -v3, v5, 1.0
	v_fmac_f32_e32 v5, v7, v5
	v_mul_f32_e32 v7, v6, v5
	v_fma_f32 v8, -v3, v7, v6
	v_fmac_f32_e32 v7, v8, v5
	v_fma_f32 v3, -v3, v7, v6
	v_div_fmas_f32 v3, v3, v5, v7
	v_div_fixup_f32 v3, v3, v2, 1.0
.LBB3_28:
	s_or_b64 exec, exec, s[8:9]
.LBB3_29:
	ds_write_b32 v1, v3
.LBB3_30:
	s_or_b64 exec, exec, s[4:5]
	v_lshlrev_b32_e32 v2, 2, v0
	s_lshl_b32 s19, s18, 2
	v_lshlrev_b32_e32 v1, 2, v4
	s_mov_b32 s8, 4
	s_add_i32 s9, s19, 4
	v_add_u32_e32 v3, s19, v2
	s_mov_b32 s10, 0
	s_waitcnt lgkmcnt(0)
	s_barrier
	s_branch .LBB3_32
.LBB3_31:                               ;   in Loop: Header=BB3_32 Depth=1
	s_add_i32 s8, s8, s9
	s_cmp_eq_u32 s10, s18
	v_add_u32_e32 v3, s19, v3
	s_barrier
	s_cbranch_scc1 .LBB3_41
.LBB3_32:                               ; =>This Loop Header: Depth=1
                                        ;     Child Loop BB3_37 Depth 2
	v_cmp_lt_u32_e32 vcc, s10, v0
	s_mul_i32 s11, s10, s18
	v_mov_b32_e32 v4, 0
	s_and_saveexec_b64 s[4:5], vcc
	s_cbranch_execz .LBB3_34
; %bb.33:                               ;   in Loop: Header=BB3_32 Depth=1
	s_lshl_b32 s17, s10, 2
	s_lshl_b32 s20, s11, 2
	s_add_i32 s17, s17, s20
	v_add_u32_e32 v4, s20, v2
	v_mov_b32_e32 v5, s17
	ds_read_b32 v4, v4
	ds_read_b32 v5, v5
	s_waitcnt lgkmcnt(0)
	v_fma_f32 v4, v4, v5, 0
.LBB3_34:                               ;   in Loop: Header=BB3_32 Depth=1
	s_or_b64 exec, exec, s[4:5]
	s_add_i32 s10, s10, 1
	s_cmp_ge_i32 s10, s18
	s_barrier
	s_cbranch_scc1 .LBB3_31
; %bb.35:                               ;   in Loop: Header=BB3_32 Depth=1
	v_lshl_add_u32 v5, s11, 2, v2
	v_mov_b32_e32 v6, v3
	s_mov_b32 s11, s8
	s_mov_b32 s17, s10
	s_branch .LBB3_37
.LBB3_36:                               ;   in Loop: Header=BB3_37 Depth=2
	s_or_b64 exec, exec, s[4:5]
	s_add_i32 s17, s17, 1
	s_add_i32 s11, s11, 4
	s_cmp_eq_u32 s18, s17
	v_add_u32_e32 v6, s19, v6
	s_barrier
	s_cbranch_scc1 .LBB3_31
.LBB3_37:                               ;   Parent Loop BB3_32 Depth=1
                                        ; =>  This Inner Loop Header: Depth=2
	v_cmp_eq_u32_e32 vcc, s17, v0
	s_and_saveexec_b64 s[4:5], vcc
	s_cbranch_execz .LBB3_39
; %bb.38:                               ;   in Loop: Header=BB3_37 Depth=2
	ds_read_b32 v7, v1
	s_waitcnt lgkmcnt(0)
	v_mul_f32_e64 v7, -v4, v7
	ds_write_b32 v5, v7
.LBB3_39:                               ;   in Loop: Header=BB3_37 Depth=2
	s_or_b64 exec, exec, s[4:5]
	v_cmp_lt_u32_e32 vcc, s17, v0
	s_waitcnt lgkmcnt(0)
	s_barrier
	s_and_saveexec_b64 s[4:5], vcc
	s_cbranch_execz .LBB3_36
; %bb.40:                               ;   in Loop: Header=BB3_37 Depth=2
	v_mov_b32_e32 v8, s11
	ds_read_b32 v7, v6
	ds_read_b32 v8, v8
	s_waitcnt lgkmcnt(0)
	v_fmac_f32_e32 v4, v7, v8
	s_branch .LBB3_36
.LBB3_41:
	s_and_saveexec_b64 s[4:5], s[6:7]
	s_cbranch_execz .LBB3_62
; %bb.42:
	s_load_dwordx4 s[8:11], s[0:1], 0x50
	s_load_dword s4, s[0:1], 0x48
	s_waitcnt lgkmcnt(0)
	s_mul_i32 s1, s9, s3
	s_mul_hi_u32 s5, s8, s3
	s_mul_i32 s0, s8, s3
	s_add_i32 s1, s5, s1
	s_lshl_b64 s[6:7], s[0:1], 2
	s_add_u32 s3, s12, s6
	s_addc_u32 s5, s13, s7
	s_lshl_b64 s[0:1], s[14:15], 2
	s_add_u32 s8, s3, s0
	s_mul_i32 s3, s11, s2
	s_mul_hi_u32 s9, s10, s2
	s_addc_u32 s5, s5, s1
	s_add_i32 s3, s9, s3
	s_mul_i32 s2, s10, s2
	s_lshl_b64 s[2:3], s[2:3], 2
	s_add_u32 s8, s8, s2
	s_addc_u32 s9, s5, s3
	s_cmpk_lg_i32 s16, 0x7a
	s_mov_b64 s[10:11], -1
	s_cbranch_scc0 .LBB3_51
; %bb.43:
	s_add_i32 s16, s18, -1
	v_sub_u32_e32 v1, s18, v0
	v_mov_b32_e32 v5, 0
	s_ashr_i32 s5, s4, 31
	v_cmp_lt_u32_e32 vcc, 1, v1
	s_mov_b64 s[14:15], -1
	v_mov_b32_e32 v7, s16
	s_and_saveexec_b64 s[10:11], vcc
	s_cbranch_execz .LBB3_47
; %bb.44:
	v_sub_u32_e32 v3, s16, v0
	v_lshlrev_b32_e32 v4, 2, v0
	v_and_b32_e32 v6, -2, v1
	v_lshlrev_b32_e32 v3, 2, v3
	v_lshl_add_u64 v[4:5], s[8:9], 0, v[4:5]
	s_mov_b32 s17, s16
	s_mov_b32 s20, s4
	s_mov_b32 s21, s5
	s_mov_b32 s22, s18
	s_add_i32 s23, s16, -1
	s_mov_b32 s24, s16
	s_mov_b64 s[14:15], 0
	v_mov_b32_e32 v7, v6
.LBB3_45:                               ; =>This Inner Loop Header: Depth=1
	s_sub_i32 s25, s16, s24
	s_sub_i32 s27, s17, s23
	s_mul_i32 s25, s25, s18
	s_mul_i32 s34, s27, s22
	v_lshl_add_u32 v8, s25, 2, v3
	v_lshl_add_u32 v9, s34, 2, v3
	ds_read_b32 v12, v8
	ds_read_b32 v13, v9
	s_mul_i32 s29, s21, s23
	s_mul_hi_u32 s30, s20, s23
	s_mul_i32 s31, s5, s24
	s_mul_hi_u32 s33, s4, s24
	v_add_u32_e32 v7, -2, v7
	s_mul_i32 s26, s20, s23
	s_mul_i32 s28, s4, s24
	s_add_i32 s23, s23, -2
	s_add_i32 s24, s24, -2
	s_add_i32 s27, s30, s29
	s_add_i32 s29, s33, s31
	v_cmp_eq_u32_e32 vcc, 0, v7
	v_lshl_add_u64 v[8:9], s[28:29], 2, v[4:5]
	s_or_b64 s[14:15], vcc, s[14:15]
	v_lshl_add_u64 v[10:11], s[26:27], 2, v[4:5]
	s_waitcnt lgkmcnt(1)
	global_store_dword v[8:9], v12, off
	s_waitcnt lgkmcnt(0)
	global_store_dword v[10:11], v13, off
	s_andn2_b64 exec, exec, s[14:15]
	s_cbranch_execnz .LBB3_45
; %bb.46:
	s_or_b64 exec, exec, s[14:15]
	v_cmp_ne_u32_e32 vcc, v1, v6
	v_sub_u32_e32 v7, s16, v6
	s_orn2_b64 s[14:15], vcc, exec
.LBB3_47:
	s_or_b64 exec, exec, s[10:11]
	s_and_saveexec_b64 s[10:11], s[14:15]
	s_cbranch_execz .LBB3_50
; %bb.48:
	v_mad_u64_u32 v[4:5], s[14:15], s4, v7, 0
	s_add_u32 s16, s2, s6
	v_mov_b32_e32 v6, v5
	s_addc_u32 s17, s3, s7
	v_mad_u64_u32 v[8:9], s[14:15], s5, v7, v[6:7]
	s_add_u32 s14, s0, s16
	v_mov_b32_e32 v5, v8
	s_addc_u32 s15, s1, s17
	v_lshl_add_u64 v[4:5], v[4:5], 2, s[14:15]
	v_mov_b32_e32 v3, 0
	v_lshl_add_u64 v[4:5], v[4:5], 0, v[2:3]
	v_lshlrev_b32_e32 v3, 2, v7
	v_sub_u32_e32 v3, s19, v3
	s_lshl_b64 s[16:17], s[4:5], 2
	v_mul_lo_u32 v3, s18, v3
	s_sub_u32 s16, 0, s16
	v_sub_u32_e32 v3, v3, v2
	v_add_u32_e32 v1, 1, v7
	v_lshl_add_u64 v[4:5], s[12:13], 0, v[4:5]
	s_mov_b64 s[14:15], 0
	s_subb_u32 s17, 0, s17
	v_add_u32_e32 v3, -4, v3
.LBB3_49:                               ; =>This Inner Loop Header: Depth=1
	ds_read_b32 v6, v3
	v_add_u32_e32 v1, -1, v1
	v_cmp_le_u32_e32 vcc, v1, v0
	v_add_u32_e32 v3, s19, v3
	s_or_b64 s[14:15], vcc, s[14:15]
	s_waitcnt lgkmcnt(0)
	global_store_dword v[4:5], v6, off
	v_lshl_add_u64 v[4:5], v[4:5], 0, s[16:17]
	s_andn2_b64 exec, exec, s[14:15]
	s_cbranch_execnz .LBB3_49
.LBB3_50:
	s_or_b64 exec, exec, s[10:11]
	s_mov_b64 s[10:11], 0
.LBB3_51:
	s_andn2_b64 vcc, exec, s[10:11]
	s_cbranch_vccnz .LBB3_62
; %bb.52:
	v_mov_b32_e32 v4, 0
	v_add_u32_e32 v3, 1, v0
	v_cmp_gt_u32_e64 s[10:11], 3, v0
	v_cmp_lt_u32_e32 vcc, 2, v0
	s_and_saveexec_b64 s[14:15], vcc
	s_cbranch_execz .LBB3_59
; %bb.53:
	s_cmp_eq_u32 s18, 1
	s_cselect_b64 s[16:17], -1, 0
	s_cmp_eq_u32 s4, 1
	s_cselect_b64 s[20:21], -1, 0
	s_and_b64 s[16:17], s[16:17], s[20:21]
	s_and_b64 vcc, exec, s[16:17]
	s_cbranch_vccz .LBB3_57
; %bb.54:
	v_lshlrev_b32_e32 v0, 2, v0
	v_mov_b32_e32 v1, 0
	v_and_b32_e32 v4, 0x7fe, v3
	v_lshl_add_u64 v[0:1], s[8:9], 0, v[0:1]
	s_mov_b64 s[8:9], 0
	v_mov_b32_e32 v5, v2
	v_mov_b32_e32 v6, v4
.LBB3_55:                               ; =>This Inner Loop Header: Depth=1
	ds_read2_b32 v[8:9], v5 offset1:1
	v_add_u32_e32 v6, -2, v6
	v_cmp_eq_u32_e32 vcc, 0, v6
	v_add_u32_e32 v5, 8, v5
	s_or_b64 s[8:9], vcc, s[8:9]
	s_waitcnt lgkmcnt(0)
	global_store_dwordx2 v[0:1], v[8:9], off
	v_lshl_add_u64 v[0:1], v[0:1], 0, 8
	s_andn2_b64 exec, exec, s[8:9]
	s_cbranch_execnz .LBB3_55
; %bb.56:
	s_or_b64 exec, exec, s[8:9]
	v_cmp_ne_u32_e64 s[8:9], v3, v4
	s_branch .LBB3_58
.LBB3_57:
	s_mov_b64 s[8:9], -1
	v_mov_b32_e32 v4, 0
.LBB3_58:
	s_andn2_b64 s[10:11], s[10:11], exec
	s_and_b64 s[8:9], s[8:9], exec
	s_or_b64 s[10:11], s[10:11], s[8:9]
.LBB3_59:
	s_or_b64 exec, exec, s[14:15]
	s_and_b64 exec, exec, s[10:11]
	s_cbranch_execz .LBB3_62
; %bb.60:
	s_ashr_i32 s5, s4, 31
	s_add_u32 s6, s2, s6
	s_addc_u32 s7, s3, s7
	s_add_u32 s0, s0, s6
	v_mad_i64_i32 v[0:1], s[2:3], s4, v4, 0
	s_addc_u32 s1, s1, s7
	v_sub_u32_e32 v5, v3, v4
	v_lshl_add_u64 v[0:1], v[0:1], 2, s[0:1]
	v_mov_b32_e32 v3, 0
	v_lshl_add_u64 v[0:1], v[0:1], 0, v[2:3]
	v_mul_lo_u32 v3, v4, s18
	v_lshl_add_u64 v[0:1], s[12:13], 0, v[0:1]
	s_lshl_b64 s[0:1], s[4:5], 2
	v_lshl_add_u32 v2, v3, 2, v2
	s_mov_b64 s[2:3], 0
.LBB3_61:                               ; =>This Inner Loop Header: Depth=1
	ds_read_b32 v3, v2
	v_add_u32_e32 v5, -1, v5
	v_cmp_eq_u32_e32 vcc, 0, v5
	v_add_u32_e32 v2, s19, v2
	s_or_b64 s[2:3], vcc, s[2:3]
	s_waitcnt lgkmcnt(0)
	global_store_dword v[0:1], v3, off
	v_lshl_add_u64 v[0:1], v[0:1], 0, s[0:1]
	s_andn2_b64 exec, exec, s[2:3]
	s_cbranch_execnz .LBB3_61
.LBB3_62:
	s_endpgm
	.section	.rodata,"a",@progbits
	.p2align	6, 0x0
	.amdhsa_kernel _ZL30rocblas_trtri_remainder_kernelILi16EfPKfPfEv13rocblas_fill_17rocblas_diagonal_iT1_lillT2_lilli
		.amdhsa_group_segment_fixed_size 4096
		.amdhsa_private_segment_fixed_size 0
		.amdhsa_kernarg_size 100
		.amdhsa_user_sgpr_count 2
		.amdhsa_user_sgpr_dispatch_ptr 0
		.amdhsa_user_sgpr_queue_ptr 0
		.amdhsa_user_sgpr_kernarg_segment_ptr 1
		.amdhsa_user_sgpr_dispatch_id 0
		.amdhsa_user_sgpr_kernarg_preload_length 0
		.amdhsa_user_sgpr_kernarg_preload_offset 0
		.amdhsa_user_sgpr_private_segment_size 0
		.amdhsa_uses_dynamic_stack 0
		.amdhsa_enable_private_segment 0
		.amdhsa_system_sgpr_workgroup_id_x 1
		.amdhsa_system_sgpr_workgroup_id_y 0
		.amdhsa_system_sgpr_workgroup_id_z 1
		.amdhsa_system_sgpr_workgroup_info 0
		.amdhsa_system_vgpr_workitem_id 0
		.amdhsa_next_free_vgpr 14
		.amdhsa_next_free_sgpr 47
		.amdhsa_accum_offset 16
		.amdhsa_reserve_vcc 1
		.amdhsa_float_round_mode_32 0
		.amdhsa_float_round_mode_16_64 0
		.amdhsa_float_denorm_mode_32 3
		.amdhsa_float_denorm_mode_16_64 3
		.amdhsa_dx10_clamp 1
		.amdhsa_ieee_mode 1
		.amdhsa_fp16_overflow 0
		.amdhsa_tg_split 0
		.amdhsa_exception_fp_ieee_invalid_op 0
		.amdhsa_exception_fp_denorm_src 0
		.amdhsa_exception_fp_ieee_div_zero 0
		.amdhsa_exception_fp_ieee_overflow 0
		.amdhsa_exception_fp_ieee_underflow 0
		.amdhsa_exception_fp_ieee_inexact 0
		.amdhsa_exception_int_div_zero 0
	.end_amdhsa_kernel
	.section	.text._ZL30rocblas_trtri_remainder_kernelILi16EfPKfPfEv13rocblas_fill_17rocblas_diagonal_iT1_lillT2_lilli,"axG",@progbits,_ZL30rocblas_trtri_remainder_kernelILi16EfPKfPfEv13rocblas_fill_17rocblas_diagonal_iT1_lillT2_lilli,comdat
.Lfunc_end3:
	.size	_ZL30rocblas_trtri_remainder_kernelILi16EfPKfPfEv13rocblas_fill_17rocblas_diagonal_iT1_lillT2_lilli, .Lfunc_end3-_ZL30rocblas_trtri_remainder_kernelILi16EfPKfPfEv13rocblas_fill_17rocblas_diagonal_iT1_lillT2_lilli
                                        ; -- End function
	.set _ZL30rocblas_trtri_remainder_kernelILi16EfPKfPfEv13rocblas_fill_17rocblas_diagonal_iT1_lillT2_lilli.num_vgpr, 14
	.set _ZL30rocblas_trtri_remainder_kernelILi16EfPKfPfEv13rocblas_fill_17rocblas_diagonal_iT1_lillT2_lilli.num_agpr, 0
	.set _ZL30rocblas_trtri_remainder_kernelILi16EfPKfPfEv13rocblas_fill_17rocblas_diagonal_iT1_lillT2_lilli.numbered_sgpr, 47
	.set _ZL30rocblas_trtri_remainder_kernelILi16EfPKfPfEv13rocblas_fill_17rocblas_diagonal_iT1_lillT2_lilli.num_named_barrier, 0
	.set _ZL30rocblas_trtri_remainder_kernelILi16EfPKfPfEv13rocblas_fill_17rocblas_diagonal_iT1_lillT2_lilli.private_seg_size, 0
	.set _ZL30rocblas_trtri_remainder_kernelILi16EfPKfPfEv13rocblas_fill_17rocblas_diagonal_iT1_lillT2_lilli.uses_vcc, 1
	.set _ZL30rocblas_trtri_remainder_kernelILi16EfPKfPfEv13rocblas_fill_17rocblas_diagonal_iT1_lillT2_lilli.uses_flat_scratch, 0
	.set _ZL30rocblas_trtri_remainder_kernelILi16EfPKfPfEv13rocblas_fill_17rocblas_diagonal_iT1_lillT2_lilli.has_dyn_sized_stack, 0
	.set _ZL30rocblas_trtri_remainder_kernelILi16EfPKfPfEv13rocblas_fill_17rocblas_diagonal_iT1_lillT2_lilli.has_recursion, 0
	.set _ZL30rocblas_trtri_remainder_kernelILi16EfPKfPfEv13rocblas_fill_17rocblas_diagonal_iT1_lillT2_lilli.has_indirect_call, 0
	.section	.AMDGPU.csdata,"",@progbits
; Kernel info:
; codeLenInByte = 2300
; TotalNumSgprs: 53
; NumVgprs: 14
; NumAgprs: 0
; TotalNumVgprs: 14
; ScratchSize: 0
; MemoryBound: 0
; FloatMode: 240
; IeeeMode: 1
; LDSByteSize: 4096 bytes/workgroup (compile time only)
; SGPRBlocks: 6
; VGPRBlocks: 1
; NumSGPRsForWavesPerEU: 53
; NumVGPRsForWavesPerEU: 14
; AccumOffset: 16
; Occupancy: 8
; WaveLimiterHint : 0
; COMPUTE_PGM_RSRC2:SCRATCH_EN: 0
; COMPUTE_PGM_RSRC2:USER_SGPR: 2
; COMPUTE_PGM_RSRC2:TRAP_HANDLER: 0
; COMPUTE_PGM_RSRC2:TGID_X_EN: 1
; COMPUTE_PGM_RSRC2:TGID_Y_EN: 0
; COMPUTE_PGM_RSRC2:TGID_Z_EN: 1
; COMPUTE_PGM_RSRC2:TIDIG_COMP_CNT: 0
; COMPUTE_PGM_RSRC3_GFX90A:ACCUM_OFFSET: 3
; COMPUTE_PGM_RSRC3_GFX90A:TG_SPLIT: 0
	.section	.text._ZL18rocblas_trtri_fillILi128EdPdEvP15_rocblas_handle13rocblas_fill_ililT1_llii,"axG",@progbits,_ZL18rocblas_trtri_fillILi128EdPdEvP15_rocblas_handle13rocblas_fill_ililT1_llii,comdat
	.globl	_ZL18rocblas_trtri_fillILi128EdPdEvP15_rocblas_handle13rocblas_fill_ililT1_llii ; -- Begin function _ZL18rocblas_trtri_fillILi128EdPdEvP15_rocblas_handle13rocblas_fill_ililT1_llii
	.p2align	8
	.type	_ZL18rocblas_trtri_fillILi128EdPdEvP15_rocblas_handle13rocblas_fill_ililT1_llii,@function
_ZL18rocblas_trtri_fillILi128EdPdEvP15_rocblas_handle13rocblas_fill_ililT1_llii: ; @_ZL18rocblas_trtri_fillILi128EdPdEvP15_rocblas_handle13rocblas_fill_ililT1_llii
; %bb.0:
	s_mov_b32 s4, s2
	s_load_dword s2, s[0:1], 0x40
	s_load_dwordx2 s[12:13], s[0:1], 0x10
	s_waitcnt lgkmcnt(0)
	s_ashr_i32 s5, s2, 31
	s_mul_hi_u32 s6, s12, s2
	s_mul_i32 s5, s12, s5
	s_add_i32 s5, s6, s5
	s_mul_i32 s6, s13, s2
	s_add_i32 s15, s5, s6
	s_mov_b32 s5, 0
	s_lshl_b64 s[4:5], s[4:5], 7
	s_mul_i32 s14, s12, s2
	v_or_b32_e32 v0, s4, v0
	v_mov_b32_e32 v1, s5
	v_cmp_gt_u64_e32 vcc, s[14:15], v[0:1]
	s_and_saveexec_b64 s[4:5], vcc
	s_cbranch_execz .LBB4_14
; %bb.1:
	v_cvt_f32_u32_e32 v5, s12
	v_cvt_f32_u32_e32 v6, s13
	s_load_dword s16, s[0:1], 0x18
	s_load_dwordx8 s[4:11], s[0:1], 0x20
	s_load_dwordx2 s[18:19], s[0:1], 0x8
	v_mov_b32_e32 v4, 0
	s_mov_b32 s20, 0
	v_fmac_f32_e32 v5, 0x4f800000, v6
	s_waitcnt lgkmcnt(0)
	s_mul_i32 s2, s11, s3
	s_mul_hi_u32 s11, s10, s3
	v_rcp_f32_e32 v5, v5
	v_cvt_f32_u32_e32 v6, s12
	s_add_i32 s11, s11, s2
	s_mul_i32 s10, s10, s3
	s_ashr_i32 s17, s16, 31
	s_lshl_b64 s[2:3], s[10:11], 3
	s_add_u32 s6, s6, s2
	s_addc_u32 s7, s7, s3
	s_lshl_b64 s[2:3], s[8:9], 3
	v_mul_f32_e32 v5, 0x5f7ffffc, v5
	v_rcp_iflag_f32_e32 v6, v6
	s_add_u32 s2, s6, s2
	v_mul_f32_e32 v7, 0x2f800000, v5
	s_addc_u32 s3, s7, s3
	s_add_i32 s6, s19, -2
	s_load_dword s8, s[0:1], 0x48
	s_load_dword s9, s[0:1], 0x54
	v_trunc_f32_e32 v7, v7
	v_cvt_f64_i32_e32 v[2:3], s6
	s_add_i32 s6, s19, -1
	v_fmac_f32_e32 v5, 0xcf800000, v7
	s_mul_hi_i32 s7, s6, s19
	s_mul_i32 s6, s6, s19
	v_cvt_u32_f32_e32 v13, v5
	v_mul_f32_e32 v5, 0x4f7ffffe, v6
	s_ashr_i32 s24, s19, 31
	s_lshl_b64 s[0:1], s[6:7], 2
	v_cvt_u32_f32_e32 v14, v7
	v_cvt_u32_f32_e32 v15, v5
	s_mov_b32 s25, s19
	s_add_u32 s19, s0, -7
	s_addc_u32 s26, s1, -1
	s_waitcnt lgkmcnt(0)
	s_and_b32 s0, s9, 0xffff
	s_lshr_b64 s[6:7], s[6:7], 1
	s_mul_hi_u32 s9, s0, s8
	s_mul_i32 s8, s0, s8
	s_mov_b64 s[10:11], 0
	s_brev_b32 s21, 8
	v_mov_b32_e32 v12, 0x260
	s_movk_i32 s27, 0xffe0
	v_mov_b32_e32 v16, 0x100
	v_mov_b32_e32 v17, 0xffffff80
	;; [unrolled: 1-line block ×4, first 2 shown]
	s_branch .LBB4_3
.LBB4_2:                                ;   in Loop: Header=BB4_3 Depth=1
	v_lshl_add_u64 v[0:1], v[0:1], 0, s[8:9]
	v_cmp_le_u64_e32 vcc, s[14:15], v[0:1]
	s_or_b64 s[10:11], vcc, s[10:11]
	s_andn2_b64 exec, exec, s[10:11]
	s_cbranch_execz .LBB4_14
.LBB4_3:                                ; =>This Inner Loop Header: Depth=1
	v_or_b32_e32 v5, s13, v1
	v_cmp_ne_u64_e32 vcc, 0, v[4:5]
                                        ; implicit-def: $vgpr8_vgpr9
	s_and_saveexec_b64 s[0:1], vcc
	s_xor_b64 s[22:23], exec, s[0:1]
	s_cbranch_execz .LBB4_5
; %bb.4:                                ;   in Loop: Header=BB4_3 Depth=1
	s_sub_u32 s28, 0, s12
	v_readfirstlane_b32 s0, v13
	v_readfirstlane_b32 s31, v14
	s_subb_u32 s29, 0, s13
	s_mul_hi_u32 s30, s28, s0
	s_mul_i32 s33, s28, s31
	s_mul_i32 s1, s29, s0
	s_add_i32 s30, s30, s33
	s_add_i32 s30, s30, s1
	s_mul_i32 s34, s28, s0
	s_mul_i32 s33, s0, s30
	s_mul_hi_u32 s35, s0, s34
	s_mul_hi_u32 s1, s0, s30
	s_add_u32 s33, s35, s33
	s_addc_u32 s1, 0, s1
	s_mul_hi_u32 s36, s31, s34
	s_mul_i32 s34, s31, s34
	s_add_u32 s33, s33, s34
	s_mul_hi_u32 s35, s31, s30
	s_addc_u32 s1, s1, s36
	s_addc_u32 s33, s35, 0
	s_mul_i32 s30, s31, s30
	s_add_u32 s1, s1, s30
	s_addc_u32 s30, 0, s33
	s_add_u32 s33, s0, s1
	s_cselect_b64 s[0:1], -1, 0
	s_cmp_lg_u64 s[0:1], 0
	s_addc_u32 s30, s31, s30
	s_mul_i32 s0, s28, s30
	s_mul_hi_u32 s1, s28, s33
	s_add_i32 s0, s1, s0
	s_mul_i32 s29, s29, s33
	s_add_i32 s0, s0, s29
	s_mul_i32 s28, s28, s33
	s_mul_hi_u32 s29, s30, s28
	s_mul_i32 s31, s30, s28
	s_mul_i32 s35, s33, s0
	s_mul_hi_u32 s28, s33, s28
	s_mul_hi_u32 s34, s33, s0
	s_add_u32 s28, s28, s35
	s_addc_u32 s34, 0, s34
	s_add_u32 s28, s28, s31
	s_mul_hi_u32 s1, s30, s0
	s_addc_u32 s28, s34, s29
	s_addc_u32 s1, s1, 0
	s_mul_i32 s0, s30, s0
	s_add_u32 s0, s28, s0
	s_addc_u32 s28, 0, s1
	s_add_u32 s29, s33, s0
	s_cselect_b64 s[0:1], -1, 0
	s_cmp_lg_u64 s[0:1], 0
	s_addc_u32 s28, s30, s28
	v_mad_u64_u32 v[8:9], s[0:1], v0, s28, 0
	v_mul_hi_u32 v10, v0, s29
	v_mov_b32_e32 v11, v4
	v_lshl_add_u64 v[8:9], v[10:11], 0, v[8:9]
	v_mad_u64_u32 v[18:19], s[0:1], v1, s29, 0
	v_add_co_u32_e32 v5, vcc, v8, v18
	v_mad_u64_u32 v[10:11], s[0:1], v1, s28, 0
	s_nop 0
	v_addc_co_u32_e32 v8, vcc, v9, v19, vcc
	v_mov_b32_e32 v9, v4
	s_nop 0
	v_addc_co_u32_e32 v11, vcc, 0, v11, vcc
	v_lshl_add_u64 v[8:9], v[8:9], 0, v[10:11]
	v_mul_lo_u32 v5, s13, v8
	v_mul_lo_u32 v18, s12, v9
	v_mad_u64_u32 v[10:11], s[0:1], s12, v8, 0
	v_add3_u32 v5, v11, v18, v5
	v_sub_u32_e32 v11, v1, v5
	v_mov_b32_e32 v18, s13
	v_sub_co_u32_e32 v20, vcc, v0, v10
	s_nop 1
	v_subb_co_u32_e64 v10, s[0:1], v11, v18, vcc
	v_subrev_co_u32_e64 v11, s[0:1], s12, v20
	v_subb_co_u32_e32 v5, vcc, v1, v5, vcc
	s_nop 0
	v_subbrev_co_u32_e64 v10, s[0:1], 0, v10, s[0:1]
	v_cmp_le_u32_e64 s[0:1], s13, v10
	v_cmp_le_u32_e32 vcc, s13, v5
	s_nop 0
	v_cndmask_b32_e64 v18, 0, -1, s[0:1]
	v_cmp_le_u32_e64 s[0:1], s12, v11
	s_nop 1
	v_cndmask_b32_e64 v11, 0, -1, s[0:1]
	v_cmp_eq_u32_e64 s[0:1], s13, v10
	s_nop 1
	v_cndmask_b32_e64 v21, v18, v11, s[0:1]
	v_lshl_add_u64 v[10:11], v[8:9], 0, 2
	v_lshl_add_u64 v[18:19], v[8:9], 0, 1
	v_cmp_ne_u32_e64 s[0:1], 0, v21
	s_nop 1
	v_cndmask_b32_e64 v11, v19, v11, s[0:1]
	v_cndmask_b32_e64 v19, 0, -1, vcc
	v_cmp_le_u32_e32 vcc, s12, v20
	s_nop 1
	v_cndmask_b32_e64 v20, 0, -1, vcc
	v_cmp_eq_u32_e32 vcc, s13, v5
	s_nop 1
	v_cndmask_b32_e32 v5, v19, v20, vcc
	v_cmp_ne_u32_e32 vcc, 0, v5
	v_cndmask_b32_e64 v5, v18, v10, s[0:1]
	s_nop 0
	v_cndmask_b32_e32 v9, v9, v11, vcc
	v_cndmask_b32_e32 v8, v8, v5, vcc
.LBB4_5:                                ;   in Loop: Header=BB4_3 Depth=1
	s_andn2_saveexec_b64 s[0:1], s[22:23]
	s_cbranch_execz .LBB4_7
; %bb.6:                                ;   in Loop: Header=BB4_3 Depth=1
	s_sub_i32 s22, 0, s12
	v_mul_lo_u32 v5, s22, v15
	v_mul_hi_u32 v5, v15, v5
	v_add_u32_e32 v5, v15, v5
	v_mul_hi_u32 v5, v0, v5
	v_mul_lo_u32 v8, v5, s12
	v_sub_u32_e32 v8, v0, v8
	v_subrev_u32_e32 v9, s12, v8
	v_cmp_le_u32_e32 vcc, s12, v8
	s_nop 1
	v_cndmask_b32_e32 v8, v8, v9, vcc
	v_add_u32_e32 v9, 1, v5
	v_cndmask_b32_e32 v5, v5, v9, vcc
	v_add_u32_e32 v9, 1, v5
	v_cmp_le_u32_e32 vcc, s12, v8
	s_nop 1
	v_cndmask_b32_e32 v8, v5, v9, vcc
	v_mov_b32_e32 v9, v4
.LBB4_7:                                ;   in Loop: Header=BB4_3 Depth=1
	s_or_b64 exec, exec, s[0:1]
	v_mul_lo_u32 v5, v9, s12
	v_mul_lo_u32 v18, v8, s13
	v_mad_u64_u32 v[10:11], s[0:1], v8, s12, 0
	v_add3_u32 v5, v11, v18, v5
	v_sub_co_u32_e32 v10, vcc, v0, v10
	s_cmpk_lt_i32 s18, 0x7a
	s_nop 0
	v_subb_co_u32_e32 v11, vcc, v1, v5, vcc
	s_mov_b64 s[0:1], -1
	s_cbranch_scc1 .LBB4_11
; %bb.8:                                ;   in Loop: Header=BB4_3 Depth=1
	s_cmpk_eq_i32 s18, 0x7a
	s_cbranch_scc0 .LBB4_10
; %bb.9:                                ;   in Loop: Header=BB4_3 Depth=1
	v_lshlrev_b64 v[18:19], 3, v[10:11]
	v_mov_b32_e32 v5, s26
	v_sub_co_u32_e32 v20, vcc, s19, v18
	v_cvt_f64_u32_e32 v[20:21], v20
	s_nop 0
	v_subb_co_u32_e32 v5, vcc, v5, v19, vcc
	v_cvt_f64_u32_e32 v[18:19], v5
	v_ldexp_f64 v[18:19], v[18:19], 32
	v_add_f64 v[18:19], v[18:19], v[20:21]
	v_cmp_gt_f64_e32 vcc, s[20:21], v[18:19]
	s_nop 1
	v_cndmask_b32_e32 v5, 0, v16, vcc
	v_ldexp_f64 v[18:19], v[18:19], v5
	v_rsq_f64_e32 v[20:21], v[18:19]
	v_cndmask_b32_e32 v5, 0, v17, vcc
	v_cmp_class_f64_e32 vcc, v[18:19], v12
	v_mul_f64 v[22:23], v[18:19], v[20:21]
	v_mul_f64 v[20:21], v[20:21], 0.5
	v_fma_f64 v[24:25], -v[20:21], v[22:23], 0.5
	v_fmac_f64_e32 v[22:23], v[22:23], v[24:25]
	v_fma_f64 v[26:27], -v[22:23], v[22:23], v[18:19]
	v_fmac_f64_e32 v[20:21], v[20:21], v[24:25]
	v_fmac_f64_e32 v[22:23], v[26:27], v[20:21]
	v_fma_f64 v[24:25], -v[22:23], v[22:23], v[18:19]
	v_fmac_f64_e32 v[22:23], v[24:25], v[20:21]
	v_ldexp_f64 v[20:21], v[22:23], v5
	v_cndmask_b32_e32 v19, v21, v19, vcc
	v_cndmask_b32_e32 v18, v20, v18, vcc
	v_fma_f64 v[18:19], v[18:19], 0.5, -0.5
	v_floor_f64_e32 v[18:19], v[18:19]
	v_add_f64 v[18:19], v[2:3], -v[18:19]
	v_trunc_f64_e32 v[18:19], v[18:19]
	v_ldexp_f64 v[20:21], v[18:19], s27
	v_floor_f64_e32 v[20:21], v[20:21]
	v_fmac_f64_e32 v[18:19], 0xc1f00000, v[20:21]
	v_cvt_u32_f64_e32 v18, v[18:19]
	v_cvt_u32_f64_e32 v19, v[20:21]
	v_mov_b32_e32 v5, s7
	v_subrev_co_u32_e32 v20, vcc, s6, v10
	v_mul_lo_u32 v26, v8, s5
	s_nop 0
	v_subb_co_u32_e32 v21, vcc, v11, v5, vcc
	v_mov_b32_e32 v5, s24
	v_sub_co_u32_e32 v22, vcc, s25, v18
	v_mul_lo_u32 v28, v19, s16
	s_nop 0
	v_subb_co_u32_e32 v23, vcc, v5, v19, vcc
	v_lshl_add_u64 v[24:25], v[22:23], 0, -1
	v_mul_lo_u32 v5, v25, v22
	v_mul_lo_u32 v25, v24, v23
	v_mad_u64_u32 v[22:23], s[0:1], v24, v22, 0
	v_add3_u32 v23, v23, v25, v5
	v_mul_lo_u32 v5, v9, s4
	v_mad_u64_u32 v[24:25], s[0:1], v8, s4, 0
	v_add3_u32 v25, v25, v26, v5
	;; [unrolled: 3-line block ×3, first 2 shown]
	v_lshl_add_u64 v[24:25], v[24:25], 3, s[2:3]
	v_lshl_add_u64 v[24:25], v[26:27], 3, v[24:25]
	;; [unrolled: 1-line block ×4, first 2 shown]
	v_lshlrev_b64 v[20:21], 2, v[22:23]
	v_and_b32_e32 v20, -8, v20
	v_lshl_add_u64 v[18:19], v[18:19], 0, v[20:21]
	global_store_dwordx2 v[18:19], v[6:7], off offset:8
.LBB4_10:                               ;   in Loop: Header=BB4_3 Depth=1
	s_mov_b64 s[0:1], 0
.LBB4_11:                               ;   in Loop: Header=BB4_3 Depth=1
	s_andn2_b64 vcc, exec, s[0:1]
	s_cbranch_vccnz .LBB4_2
; %bb.12:                               ;   in Loop: Header=BB4_3 Depth=1
	s_cmpk_lg_i32 s18, 0x79
	s_cbranch_scc1 .LBB4_2
; %bb.13:                               ;   in Loop: Header=BB4_3 Depth=1
	v_lshlrev_b64 v[18:19], 3, v[10:11]
	v_or_b32_e32 v5, 1, v18
	v_cvt_f64_u32_e32 v[18:19], v19
	v_ldexp_f64 v[18:19], v[18:19], 32
	v_cvt_f64_u32_e32 v[20:21], v5
	v_add_f64 v[18:19], v[18:19], v[20:21]
	v_cmp_gt_f64_e32 vcc, s[20:21], v[18:19]
	s_nop 1
	v_cndmask_b32_e32 v5, 0, v16, vcc
	v_ldexp_f64 v[18:19], v[18:19], v5
	v_rsq_f64_e32 v[20:21], v[18:19]
	v_cndmask_b32_e32 v5, 0, v17, vcc
	v_cmp_class_f64_e32 vcc, v[18:19], v12
	v_mul_f64 v[22:23], v[18:19], v[20:21]
	v_mul_f64 v[20:21], v[20:21], 0.5
	v_fma_f64 v[24:25], -v[20:21], v[22:23], 0.5
	v_fmac_f64_e32 v[22:23], v[22:23], v[24:25]
	v_fma_f64 v[26:27], -v[22:23], v[22:23], v[18:19]
	v_fmac_f64_e32 v[20:21], v[20:21], v[24:25]
	v_fmac_f64_e32 v[22:23], v[26:27], v[20:21]
	v_fma_f64 v[24:25], -v[22:23], v[22:23], v[18:19]
	v_fmac_f64_e32 v[22:23], v[24:25], v[20:21]
	v_ldexp_f64 v[20:21], v[22:23], v5
	v_cndmask_b32_e32 v19, v21, v19, vcc
	v_cndmask_b32_e32 v18, v20, v18, vcc
	v_add_f64 v[18:19], v[18:19], -1.0
	v_mul_f64 v[18:19], v[18:19], 0.5
	v_trunc_f64_e32 v[18:19], v[18:19]
	v_ldexp_f64 v[20:21], v[18:19], s27
	v_floor_f64_e32 v[20:21], v[20:21]
	v_fmac_f64_e32 v[18:19], 0xc1f00000, v[20:21]
	v_cvt_u32_f64_e32 v18, v[18:19]
	v_cvt_u32_f64_e32 v19, v[20:21]
	v_mad_u64_u32 v[20:21], s[0:1], v18, v18, v[18:19]
	v_mul_lo_u32 v5, v18, v19
	v_add3_u32 v21, v5, v21, v5
	v_lshrrev_b64 v[20:21], 1, v[20:21]
	v_sub_co_u32_e32 v10, vcc, v10, v20
	v_mul_lo_u32 v5, v9, s4
	v_mul_lo_u32 v20, v8, s5
	v_mad_u64_u32 v[8:9], s[0:1], v8, s4, 0
	v_subb_co_u32_e32 v11, vcc, v11, v21, vcc
	v_add3_u32 v9, v9, v20, v5
	v_mov_b64_e32 v[20:21], s[16:17]
	v_mul_lo_u32 v5, s17, v18
	v_mad_u64_u32 v[20:21], s[0:1], s16, v18, v[20:21]
	v_mul_lo_u32 v18, s16, v19
	v_add3_u32 v21, v5, v21, v18
	v_lshl_add_u64 v[8:9], v[8:9], 3, s[2:3]
	v_lshl_add_u64 v[8:9], v[20:21], 3, v[8:9]
	;; [unrolled: 1-line block ×3, first 2 shown]
	global_store_dwordx2 v[8:9], v[6:7], off
	s_branch .LBB4_2
.LBB4_14:
	s_endpgm
	.section	.rodata,"a",@progbits
	.p2align	6, 0x0
	.amdhsa_kernel _ZL18rocblas_trtri_fillILi128EdPdEvP15_rocblas_handle13rocblas_fill_ililT1_llii
		.amdhsa_group_segment_fixed_size 0
		.amdhsa_private_segment_fixed_size 0
		.amdhsa_kernarg_size 328
		.amdhsa_user_sgpr_count 2
		.amdhsa_user_sgpr_dispatch_ptr 0
		.amdhsa_user_sgpr_queue_ptr 0
		.amdhsa_user_sgpr_kernarg_segment_ptr 1
		.amdhsa_user_sgpr_dispatch_id 0
		.amdhsa_user_sgpr_kernarg_preload_length 0
		.amdhsa_user_sgpr_kernarg_preload_offset 0
		.amdhsa_user_sgpr_private_segment_size 0
		.amdhsa_uses_dynamic_stack 0
		.amdhsa_enable_private_segment 0
		.amdhsa_system_sgpr_workgroup_id_x 1
		.amdhsa_system_sgpr_workgroup_id_y 0
		.amdhsa_system_sgpr_workgroup_id_z 1
		.amdhsa_system_sgpr_workgroup_info 0
		.amdhsa_system_vgpr_workitem_id 0
		.amdhsa_next_free_vgpr 29
		.amdhsa_next_free_sgpr 37
		.amdhsa_accum_offset 32
		.amdhsa_reserve_vcc 1
		.amdhsa_float_round_mode_32 0
		.amdhsa_float_round_mode_16_64 0
		.amdhsa_float_denorm_mode_32 3
		.amdhsa_float_denorm_mode_16_64 3
		.amdhsa_dx10_clamp 1
		.amdhsa_ieee_mode 1
		.amdhsa_fp16_overflow 0
		.amdhsa_tg_split 0
		.amdhsa_exception_fp_ieee_invalid_op 0
		.amdhsa_exception_fp_denorm_src 0
		.amdhsa_exception_fp_ieee_div_zero 0
		.amdhsa_exception_fp_ieee_overflow 0
		.amdhsa_exception_fp_ieee_underflow 0
		.amdhsa_exception_fp_ieee_inexact 0
		.amdhsa_exception_int_div_zero 0
	.end_amdhsa_kernel
	.section	.text._ZL18rocblas_trtri_fillILi128EdPdEvP15_rocblas_handle13rocblas_fill_ililT1_llii,"axG",@progbits,_ZL18rocblas_trtri_fillILi128EdPdEvP15_rocblas_handle13rocblas_fill_ililT1_llii,comdat
.Lfunc_end4:
	.size	_ZL18rocblas_trtri_fillILi128EdPdEvP15_rocblas_handle13rocblas_fill_ililT1_llii, .Lfunc_end4-_ZL18rocblas_trtri_fillILi128EdPdEvP15_rocblas_handle13rocblas_fill_ililT1_llii
                                        ; -- End function
	.set _ZL18rocblas_trtri_fillILi128EdPdEvP15_rocblas_handle13rocblas_fill_ililT1_llii.num_vgpr, 29
	.set _ZL18rocblas_trtri_fillILi128EdPdEvP15_rocblas_handle13rocblas_fill_ililT1_llii.num_agpr, 0
	.set _ZL18rocblas_trtri_fillILi128EdPdEvP15_rocblas_handle13rocblas_fill_ililT1_llii.numbered_sgpr, 37
	.set _ZL18rocblas_trtri_fillILi128EdPdEvP15_rocblas_handle13rocblas_fill_ililT1_llii.num_named_barrier, 0
	.set _ZL18rocblas_trtri_fillILi128EdPdEvP15_rocblas_handle13rocblas_fill_ililT1_llii.private_seg_size, 0
	.set _ZL18rocblas_trtri_fillILi128EdPdEvP15_rocblas_handle13rocblas_fill_ililT1_llii.uses_vcc, 1
	.set _ZL18rocblas_trtri_fillILi128EdPdEvP15_rocblas_handle13rocblas_fill_ililT1_llii.uses_flat_scratch, 0
	.set _ZL18rocblas_trtri_fillILi128EdPdEvP15_rocblas_handle13rocblas_fill_ililT1_llii.has_dyn_sized_stack, 0
	.set _ZL18rocblas_trtri_fillILi128EdPdEvP15_rocblas_handle13rocblas_fill_ililT1_llii.has_recursion, 0
	.set _ZL18rocblas_trtri_fillILi128EdPdEvP15_rocblas_handle13rocblas_fill_ililT1_llii.has_indirect_call, 0
	.section	.AMDGPU.csdata,"",@progbits
; Kernel info:
; codeLenInByte = 1852
; TotalNumSgprs: 43
; NumVgprs: 29
; NumAgprs: 0
; TotalNumVgprs: 29
; ScratchSize: 0
; MemoryBound: 0
; FloatMode: 240
; IeeeMode: 1
; LDSByteSize: 0 bytes/workgroup (compile time only)
; SGPRBlocks: 5
; VGPRBlocks: 3
; NumSGPRsForWavesPerEU: 43
; NumVGPRsForWavesPerEU: 29
; AccumOffset: 32
; Occupancy: 8
; WaveLimiterHint : 0
; COMPUTE_PGM_RSRC2:SCRATCH_EN: 0
; COMPUTE_PGM_RSRC2:USER_SGPR: 2
; COMPUTE_PGM_RSRC2:TRAP_HANDLER: 0
; COMPUTE_PGM_RSRC2:TGID_X_EN: 1
; COMPUTE_PGM_RSRC2:TGID_Y_EN: 0
; COMPUTE_PGM_RSRC2:TGID_Z_EN: 1
; COMPUTE_PGM_RSRC2:TIDIG_COMP_CNT: 0
; COMPUTE_PGM_RSRC3_GFX90A:ACCUM_OFFSET: 7
; COMPUTE_PGM_RSRC3_GFX90A:TG_SPLIT: 0
	.section	.text._ZL26rocblas_trtri_small_kernelILi16EdPKdPdEv13rocblas_fill_17rocblas_diagonal_iT1_lillT2_lilli,"axG",@progbits,_ZL26rocblas_trtri_small_kernelILi16EdPKdPdEv13rocblas_fill_17rocblas_diagonal_iT1_lillT2_lilli,comdat
	.globl	_ZL26rocblas_trtri_small_kernelILi16EdPKdPdEv13rocblas_fill_17rocblas_diagonal_iT1_lillT2_lilli ; -- Begin function _ZL26rocblas_trtri_small_kernelILi16EdPKdPdEv13rocblas_fill_17rocblas_diagonal_iT1_lillT2_lilli
	.p2align	8
	.type	_ZL26rocblas_trtri_small_kernelILi16EdPKdPdEv13rocblas_fill_17rocblas_diagonal_iT1_lillT2_lilli,@function
_ZL26rocblas_trtri_small_kernelILi16EdPKdPdEv13rocblas_fill_17rocblas_diagonal_iT1_lillT2_lilli: ; @_ZL26rocblas_trtri_small_kernelILi16EdPKdPdEv13rocblas_fill_17rocblas_diagonal_iT1_lillT2_lilli
; %bb.0:
	s_load_dwordx4 s[16:19], s[0:1], 0x0
	s_waitcnt lgkmcnt(0)
	s_cmp_lt_i32 s18, 1
	s_cbranch_scc1 .LBB5_36
; %bb.1:
	s_load_dwordx8 s[8:15], s[0:1], 0x28
	v_cmp_le_u32_e64 s[4:5], s18, v0
	v_cmp_gt_u32_e64 s[6:7], s18, v0
	s_and_saveexec_b64 s[24:25], s[6:7]
	s_cbranch_execz .LBB5_9
; %bb.2:
	s_load_dwordx4 s[20:23], s[0:1], 0x10
	s_load_dword s26, s[0:1], 0x20
	s_waitcnt lgkmcnt(0)
	s_mul_i32 s9, s9, s3
	s_mul_hi_u32 s19, s8, s3
	s_add_i32 s9, s19, s9
	s_mul_i32 s11, s11, s2
	s_mul_hi_u32 s19, s10, s2
	s_add_i32 s11, s19, s11
	s_mul_i32 s8, s8, s3
	s_mul_i32 s10, s10, s2
	s_cmpk_lg_i32 s16, 0x7a
	s_mov_b64 s[28:29], -1
	s_cbranch_scc0 .LBB5_6
; %bb.3:
	s_add_i32 s33, s18, -1
	s_ashr_i32 s27, s26, 31
	s_lshl_b32 s19, s18, 3
	s_lshl_b64 s[28:29], s[10:11], 3
	s_lshl_b64 s[30:31], s[8:9], 3
	s_add_u32 s30, s28, s30
	s_addc_u32 s31, s29, s31
	s_mul_i32 s28, s27, s33
	s_mul_hi_u32 s29, s26, s33
	s_add_i32 s29, s29, s28
	s_mul_i32 s28, s26, s33
	s_lshl_b64 s[28:29], s[28:29], 3
	s_add_u32 s30, s30, s28
	s_addc_u32 s31, s31, s29
	s_lshl_b64 s[28:29], s[22:23], 3
	s_add_u32 s28, s30, s28
	s_addc_u32 s29, s31, s29
	s_add_u32 s28, s20, s28
	s_addc_u32 s29, s21, s29
	s_lshl_b64 s[30:31], s[26:27], 3
	v_sub_u32_e32 v1, s33, v0
	v_lshlrev_b32_e32 v2, 3, v0
	v_mov_b32_e32 v3, 0
	s_sub_u32 s30, 0, s30
	v_lshlrev_b32_e32 v1, 3, v1
	v_lshl_add_u64 v[2:3], s[28:29], 0, v[2:3]
	s_mov_b64 s[28:29], 0
	s_subb_u32 s31, 0, s31
	s_mov_b32 s27, s18
.LBB5_4:                                ; =>This Inner Loop Header: Depth=1
	global_load_dwordx2 v[4:5], v[2:3], off
	s_add_i32 s27, s27, -1
	v_cmp_le_u32_e32 vcc, s27, v0
	v_lshl_add_u64 v[2:3], v[2:3], 0, s[30:31]
	s_or_b64 s[28:29], vcc, s[28:29]
	s_waitcnt vmcnt(0)
	ds_write_b64 v1, v[4:5]
	v_add_u32_e32 v1, s19, v1
	s_andn2_b64 exec, exec, s[28:29]
	s_cbranch_execnz .LBB5_4
; %bb.5:
	s_or_b64 exec, exec, s[28:29]
	s_mov_b64 s[28:29], 0
.LBB5_6:
	s_and_b64 vcc, exec, s[28:29]
	s_cbranch_vccz .LBB5_9
; %bb.7:
	s_lshl_b64 s[8:9], s[8:9], 3
	s_add_u32 s19, s20, s8
	s_addc_u32 s20, s21, s9
	s_lshl_b64 s[8:9], s[22:23], 3
	s_add_u32 s19, s19, s8
	s_addc_u32 s20, s20, s9
	;; [unrolled: 3-line block ×3, first 2 shown]
	s_ashr_i32 s27, s26, 31
	v_lshlrev_b32_e32 v2, 3, v0
	v_mov_b32_e32 v3, 0
	v_lshl_add_u64 v[4:5], s[8:9], 0, v[2:3]
	v_add_u32_e32 v1, 1, v0
	s_lshl_b32 s19, s18, 3
	s_lshl_b64 s[8:9], s[26:27], 3
	s_mov_b64 s[10:11], 0
.LBB5_8:                                ; =>This Inner Loop Header: Depth=1
	global_load_dwordx2 v[6:7], v[4:5], off
	v_add_u32_e32 v1, -1, v1
	v_cmp_eq_u32_e32 vcc, 0, v1
	v_lshl_add_u64 v[4:5], v[4:5], 0, s[8:9]
	s_or_b64 s[10:11], vcc, s[10:11]
	s_waitcnt vmcnt(0)
	ds_write_b64 v2, v[6:7]
	v_add_u32_e32 v2, s19, v2
	s_andn2_b64 exec, exec, s[10:11]
	s_cbranch_execnz .LBB5_8
.LBB5_9:
	s_or_b64 exec, exec, s[24:25]
	s_waitcnt lgkmcnt(0)
	; wave barrier
                                        ; implicit-def: $vgpr2
	s_and_saveexec_b64 s[8:9], s[4:5]
	s_xor_b64 s[4:5], exec, s[8:9]
; %bb.10:
	v_mad_u64_u32 v[2:3], s[8:9], v0, s18, v[0:1]
; %bb.11:
	s_andn2_saveexec_b64 s[4:5], s[4:5]
	s_cbranch_execz .LBB5_17
; %bb.12:
	v_mad_u64_u32 v[2:3], s[8:9], v0, s18, v[0:1]
	s_cmpk_eq_i32 s17, 0x84
	v_lshlrev_b32_e32 v1, 3, v2
	v_mov_b64_e32 v[6:7], 1.0
	s_cbranch_scc1 .LBB5_16
; %bb.13:
	ds_read_b64 v[4:5], v1
	v_mov_b64_e32 v[6:7], 1.0
	s_waitcnt lgkmcnt(0)
	v_cmp_neq_f64_e32 vcc, 0, v[4:5]
	s_and_saveexec_b64 s[8:9], vcc
	s_cbranch_execz .LBB5_15
; %bb.14:
	v_div_scale_f64 v[6:7], s[10:11], v[4:5], v[4:5], 1.0
	v_rcp_f64_e32 v[8:9], v[6:7]
	v_div_scale_f64 v[10:11], vcc, 1.0, v[4:5], 1.0
	v_fma_f64 v[12:13], -v[6:7], v[8:9], 1.0
	v_fmac_f64_e32 v[8:9], v[8:9], v[12:13]
	v_fma_f64 v[12:13], -v[6:7], v[8:9], 1.0
	v_fmac_f64_e32 v[8:9], v[8:9], v[12:13]
	v_mul_f64 v[12:13], v[10:11], v[8:9]
	v_fma_f64 v[6:7], -v[6:7], v[12:13], v[10:11]
	v_div_fmas_f64 v[6:7], v[6:7], v[8:9], v[12:13]
	v_div_fixup_f64 v[6:7], v[6:7], v[4:5], 1.0
.LBB5_15:
	s_or_b64 exec, exec, s[8:9]
.LBB5_16:
	ds_write_b64 v1, v[6:7]
.LBB5_17:
	s_or_b64 exec, exec, s[4:5]
	v_lshlrev_b32_e32 v1, 3, v0
	s_lshl_b32 s10, s18, 3
	v_lshlrev_b32_e32 v4, 3, v2
	s_mov_b32 s8, 8
	s_add_i32 s9, s10, 8
	v_add_u32_e32 v5, s10, v1
	s_mov_b32 s11, 0
	s_waitcnt lgkmcnt(0)
	; wave barrier
	s_branch .LBB5_19
.LBB5_18:                               ;   in Loop: Header=BB5_19 Depth=1
	s_add_i32 s8, s8, s9
	s_cmp_eq_u32 s11, s18
	v_add_u32_e32 v5, s10, v5
	; wave barrier
	s_cbranch_scc1 .LBB5_28
.LBB5_19:                               ; =>This Loop Header: Depth=1
                                        ;     Child Loop BB5_24 Depth 2
	v_cmp_lt_u32_e32 vcc, s11, v0
	s_mul_i32 s17, s11, s18
	v_mov_b64_e32 v[2:3], 0
	s_and_saveexec_b64 s[4:5], vcc
	s_cbranch_execz .LBB5_21
; %bb.20:                               ;   in Loop: Header=BB5_19 Depth=1
	s_lshl_b32 s19, s11, 3
	s_lshl_b32 s20, s17, 3
	s_add_i32 s19, s19, s20
	v_add_u32_e32 v2, s20, v1
	v_mov_b32_e32 v6, s19
	ds_read_b64 v[2:3], v2
	ds_read_b64 v[6:7], v6
	s_waitcnt lgkmcnt(0)
	v_fma_f64 v[2:3], v[2:3], v[6:7], 0
.LBB5_21:                               ;   in Loop: Header=BB5_19 Depth=1
	s_or_b64 exec, exec, s[4:5]
	s_add_i32 s11, s11, 1
	s_cmp_ge_i32 s11, s18
	; wave barrier
	s_cbranch_scc1 .LBB5_18
; %bb.22:                               ;   in Loop: Header=BB5_19 Depth=1
	v_lshl_add_u32 v6, s17, 3, v1
	v_mov_b32_e32 v7, v5
	s_mov_b32 s17, s8
	s_mov_b32 s19, s11
	s_branch .LBB5_24
.LBB5_23:                               ;   in Loop: Header=BB5_24 Depth=2
	s_or_b64 exec, exec, s[4:5]
	s_add_i32 s19, s19, 1
	s_add_i32 s17, s17, 8
	s_cmp_eq_u32 s18, s19
	v_add_u32_e32 v7, s10, v7
	; wave barrier
	s_cbranch_scc1 .LBB5_18
.LBB5_24:                               ;   Parent Loop BB5_19 Depth=1
                                        ; =>  This Inner Loop Header: Depth=2
	v_cmp_eq_u32_e32 vcc, s19, v0
	s_and_saveexec_b64 s[4:5], vcc
	s_cbranch_execz .LBB5_26
; %bb.25:                               ;   in Loop: Header=BB5_24 Depth=2
	ds_read_b64 v[8:9], v4
	v_add_f64 v[10:11], -v[2:3], 0
	s_waitcnt lgkmcnt(0)
	v_mul_f64 v[8:9], v[10:11], v[8:9]
	ds_write_b64 v6, v[8:9]
.LBB5_26:                               ;   in Loop: Header=BB5_24 Depth=2
	s_or_b64 exec, exec, s[4:5]
	v_cmp_lt_u32_e32 vcc, s19, v0
	s_waitcnt lgkmcnt(0)
	; wave barrier
	s_and_saveexec_b64 s[4:5], vcc
	s_cbranch_execz .LBB5_23
; %bb.27:                               ;   in Loop: Header=BB5_24 Depth=2
	v_mov_b32_e32 v10, s17
	ds_read_b64 v[8:9], v7
	ds_read_b64 v[10:11], v10
	s_waitcnt lgkmcnt(0)
	v_fmac_f64_e32 v[2:3], v[8:9], v[10:11]
	s_branch .LBB5_23
.LBB5_28:
	s_and_saveexec_b64 s[4:5], s[6:7]
	s_cbranch_execz .LBB5_36
; %bb.29:
	s_load_dwordx4 s[20:23], s[0:1], 0x50
	s_load_dword s4, s[0:1], 0x48
	s_mov_b64 s[6:7], -1
	s_waitcnt lgkmcnt(0)
	s_mul_i32 s1, s21, s3
	s_mul_hi_u32 s5, s20, s3
	s_mul_i32 s0, s20, s3
	s_mul_i32 s3, s23, s2
	s_add_i32 s1, s5, s1
	s_mul_hi_u32 s5, s22, s2
	s_add_i32 s3, s5, s3
	s_mul_i32 s2, s22, s2
	s_cmpk_lg_i32 s16, 0x7a
	s_cbranch_scc0 .LBB5_33
; %bb.30:
	s_add_i32 s11, s18, -1
	s_ashr_i32 s5, s4, 31
	s_lshl_b64 s[6:7], s[2:3], 3
	s_lshl_b64 s[8:9], s[0:1], 3
	s_add_u32 s8, s6, s8
	s_addc_u32 s9, s7, s9
	s_mul_i32 s6, s5, s11
	s_mul_hi_u32 s7, s4, s11
	s_add_i32 s7, s7, s6
	s_mul_i32 s6, s4, s11
	s_lshl_b64 s[6:7], s[6:7], 3
	s_add_u32 s8, s8, s6
	s_addc_u32 s9, s9, s7
	s_lshl_b64 s[6:7], s[14:15], 3
	s_add_u32 s6, s8, s6
	s_addc_u32 s7, s9, s7
	s_add_u32 s6, s12, s6
	v_sub_u32_e32 v2, s11, v0
	s_addc_u32 s7, s13, s7
	s_lshl_b64 s[8:9], s[4:5], 3
	v_lshlrev_b32_e32 v4, 3, v2
	v_lshlrev_b32_e32 v2, 3, v0
	v_mov_b32_e32 v3, 0
	s_sub_u32 s8, 0, s8
	v_lshl_add_u64 v[2:3], s[6:7], 0, v[2:3]
	s_mov_b64 s[6:7], 0
	s_subb_u32 s9, 0, s9
.LBB5_31:                               ; =>This Inner Loop Header: Depth=1
	ds_read_b64 v[6:7], v4
	s_add_i32 s18, s18, -1
	v_cmp_le_u32_e32 vcc, s18, v0
	v_add_u32_e32 v4, s10, v4
	s_or_b64 s[6:7], vcc, s[6:7]
	s_waitcnt lgkmcnt(0)
	global_store_dwordx2 v[2:3], v[6:7], off
	v_lshl_add_u64 v[2:3], v[2:3], 0, s[8:9]
	s_andn2_b64 exec, exec, s[6:7]
	s_cbranch_execnz .LBB5_31
; %bb.32:
	s_or_b64 exec, exec, s[6:7]
	s_mov_b64 s[6:7], 0
.LBB5_33:
	s_and_b64 vcc, exec, s[6:7]
	s_cbranch_vccz .LBB5_36
; %bb.34:
	s_lshl_b64 s[0:1], s[0:1], 3
	s_add_u32 s5, s12, s0
	s_addc_u32 s6, s13, s1
	s_lshl_b64 s[0:1], s[14:15], 3
	s_add_u32 s5, s5, s0
	s_addc_u32 s6, s6, s1
	;; [unrolled: 3-line block ×3, first 2 shown]
	s_ashr_i32 s5, s4, 31
	v_lshlrev_b32_e32 v2, 3, v0
	v_mov_b32_e32 v3, 0
	v_lshl_add_u64 v[2:3], s[0:1], 0, v[2:3]
	v_add_u32_e32 v0, 1, v0
	s_lshl_b64 s[0:1], s[4:5], 3
	s_mov_b64 s[2:3], 0
.LBB5_35:                               ; =>This Inner Loop Header: Depth=1
	ds_read_b64 v[4:5], v1
	v_add_u32_e32 v0, -1, v0
	v_cmp_eq_u32_e32 vcc, 0, v0
	v_add_u32_e32 v1, s10, v1
	s_or_b64 s[2:3], vcc, s[2:3]
	s_waitcnt lgkmcnt(0)
	global_store_dwordx2 v[2:3], v[4:5], off
	v_lshl_add_u64 v[2:3], v[2:3], 0, s[0:1]
	s_andn2_b64 exec, exec, s[2:3]
	s_cbranch_execnz .LBB5_35
.LBB5_36:
	s_endpgm
	.section	.rodata,"a",@progbits
	.p2align	6, 0x0
	.amdhsa_kernel _ZL26rocblas_trtri_small_kernelILi16EdPKdPdEv13rocblas_fill_17rocblas_diagonal_iT1_lillT2_lilli
		.amdhsa_group_segment_fixed_size 2048
		.amdhsa_private_segment_fixed_size 0
		.amdhsa_kernarg_size 100
		.amdhsa_user_sgpr_count 2
		.amdhsa_user_sgpr_dispatch_ptr 0
		.amdhsa_user_sgpr_queue_ptr 0
		.amdhsa_user_sgpr_kernarg_segment_ptr 1
		.amdhsa_user_sgpr_dispatch_id 0
		.amdhsa_user_sgpr_kernarg_preload_length 0
		.amdhsa_user_sgpr_kernarg_preload_offset 0
		.amdhsa_user_sgpr_private_segment_size 0
		.amdhsa_uses_dynamic_stack 0
		.amdhsa_enable_private_segment 0
		.amdhsa_system_sgpr_workgroup_id_x 1
		.amdhsa_system_sgpr_workgroup_id_y 0
		.amdhsa_system_sgpr_workgroup_id_z 1
		.amdhsa_system_sgpr_workgroup_info 0
		.amdhsa_system_vgpr_workitem_id 0
		.amdhsa_next_free_vgpr 14
		.amdhsa_next_free_sgpr 34
		.amdhsa_accum_offset 16
		.amdhsa_reserve_vcc 1
		.amdhsa_float_round_mode_32 0
		.amdhsa_float_round_mode_16_64 0
		.amdhsa_float_denorm_mode_32 3
		.amdhsa_float_denorm_mode_16_64 3
		.amdhsa_dx10_clamp 1
		.amdhsa_ieee_mode 1
		.amdhsa_fp16_overflow 0
		.amdhsa_tg_split 0
		.amdhsa_exception_fp_ieee_invalid_op 0
		.amdhsa_exception_fp_denorm_src 0
		.amdhsa_exception_fp_ieee_div_zero 0
		.amdhsa_exception_fp_ieee_overflow 0
		.amdhsa_exception_fp_ieee_underflow 0
		.amdhsa_exception_fp_ieee_inexact 0
		.amdhsa_exception_int_div_zero 0
	.end_amdhsa_kernel
	.section	.text._ZL26rocblas_trtri_small_kernelILi16EdPKdPdEv13rocblas_fill_17rocblas_diagonal_iT1_lillT2_lilli,"axG",@progbits,_ZL26rocblas_trtri_small_kernelILi16EdPKdPdEv13rocblas_fill_17rocblas_diagonal_iT1_lillT2_lilli,comdat
.Lfunc_end5:
	.size	_ZL26rocblas_trtri_small_kernelILi16EdPKdPdEv13rocblas_fill_17rocblas_diagonal_iT1_lillT2_lilli, .Lfunc_end5-_ZL26rocblas_trtri_small_kernelILi16EdPKdPdEv13rocblas_fill_17rocblas_diagonal_iT1_lillT2_lilli
                                        ; -- End function
	.set _ZL26rocblas_trtri_small_kernelILi16EdPKdPdEv13rocblas_fill_17rocblas_diagonal_iT1_lillT2_lilli.num_vgpr, 14
	.set _ZL26rocblas_trtri_small_kernelILi16EdPKdPdEv13rocblas_fill_17rocblas_diagonal_iT1_lillT2_lilli.num_agpr, 0
	.set _ZL26rocblas_trtri_small_kernelILi16EdPKdPdEv13rocblas_fill_17rocblas_diagonal_iT1_lillT2_lilli.numbered_sgpr, 34
	.set _ZL26rocblas_trtri_small_kernelILi16EdPKdPdEv13rocblas_fill_17rocblas_diagonal_iT1_lillT2_lilli.num_named_barrier, 0
	.set _ZL26rocblas_trtri_small_kernelILi16EdPKdPdEv13rocblas_fill_17rocblas_diagonal_iT1_lillT2_lilli.private_seg_size, 0
	.set _ZL26rocblas_trtri_small_kernelILi16EdPKdPdEv13rocblas_fill_17rocblas_diagonal_iT1_lillT2_lilli.uses_vcc, 1
	.set _ZL26rocblas_trtri_small_kernelILi16EdPKdPdEv13rocblas_fill_17rocblas_diagonal_iT1_lillT2_lilli.uses_flat_scratch, 0
	.set _ZL26rocblas_trtri_small_kernelILi16EdPKdPdEv13rocblas_fill_17rocblas_diagonal_iT1_lillT2_lilli.has_dyn_sized_stack, 0
	.set _ZL26rocblas_trtri_small_kernelILi16EdPKdPdEv13rocblas_fill_17rocblas_diagonal_iT1_lillT2_lilli.has_recursion, 0
	.set _ZL26rocblas_trtri_small_kernelILi16EdPKdPdEv13rocblas_fill_17rocblas_diagonal_iT1_lillT2_lilli.has_indirect_call, 0
	.section	.AMDGPU.csdata,"",@progbits
; Kernel info:
; codeLenInByte = 1264
; TotalNumSgprs: 40
; NumVgprs: 14
; NumAgprs: 0
; TotalNumVgprs: 14
; ScratchSize: 0
; MemoryBound: 0
; FloatMode: 240
; IeeeMode: 1
; LDSByteSize: 2048 bytes/workgroup (compile time only)
; SGPRBlocks: 4
; VGPRBlocks: 1
; NumSGPRsForWavesPerEU: 40
; NumVGPRsForWavesPerEU: 14
; AccumOffset: 16
; Occupancy: 8
; WaveLimiterHint : 0
; COMPUTE_PGM_RSRC2:SCRATCH_EN: 0
; COMPUTE_PGM_RSRC2:USER_SGPR: 2
; COMPUTE_PGM_RSRC2:TRAP_HANDLER: 0
; COMPUTE_PGM_RSRC2:TGID_X_EN: 1
; COMPUTE_PGM_RSRC2:TGID_Y_EN: 0
; COMPUTE_PGM_RSRC2:TGID_Z_EN: 1
; COMPUTE_PGM_RSRC2:TIDIG_COMP_CNT: 0
; COMPUTE_PGM_RSRC3_GFX90A:ACCUM_OFFSET: 3
; COMPUTE_PGM_RSRC3_GFX90A:TG_SPLIT: 0
	.section	.text._ZL29rocblas_trtri_diagonal_kernelILi16EdPKdPdEv13rocblas_fill_17rocblas_diagonal_iT1_lillT2_lilli,"axG",@progbits,_ZL29rocblas_trtri_diagonal_kernelILi16EdPKdPdEv13rocblas_fill_17rocblas_diagonal_iT1_lillT2_lilli,comdat
	.globl	_ZL29rocblas_trtri_diagonal_kernelILi16EdPKdPdEv13rocblas_fill_17rocblas_diagonal_iT1_lillT2_lilli ; -- Begin function _ZL29rocblas_trtri_diagonal_kernelILi16EdPKdPdEv13rocblas_fill_17rocblas_diagonal_iT1_lillT2_lilli
	.p2align	8
	.type	_ZL29rocblas_trtri_diagonal_kernelILi16EdPKdPdEv13rocblas_fill_17rocblas_diagonal_iT1_lillT2_lilli,@function
_ZL29rocblas_trtri_diagonal_kernelILi16EdPKdPdEv13rocblas_fill_17rocblas_diagonal_iT1_lillT2_lilli: ; @_ZL29rocblas_trtri_diagonal_kernelILi16EdPKdPdEv13rocblas_fill_17rocblas_diagonal_iT1_lillT2_lilli
; %bb.0:
	s_load_dwordx4 s[20:23], s[0:1], 0x0
	s_waitcnt lgkmcnt(0)
	s_ashr_i32 s4, s22, 31
	s_lshr_b32 s4, s4, 27
	s_add_i32 s4, s22, s4
	s_ashr_i32 s4, s4, 5
	v_cvt_f32_u32_e32 v1, s4
	s_sub_i32 s5, 0, s4
	v_rcp_iflag_f32_e32 v1, v1
	s_nop 0
	v_mul_f32_e32 v1, 0x4f7ffffe, v1
	v_cvt_u32_f32_e32 v1, v1
	s_nop 0
	v_readfirstlane_b32 s6, v1
	s_mul_i32 s5, s5, s6
	s_mul_hi_u32 s5, s6, s5
	s_add_i32 s6, s6, s5
	s_mul_hi_u32 s5, s2, s6
	s_mul_i32 s6, s5, s4
	s_sub_i32 s6, s2, s6
	s_add_i32 s7, s5, 1
	s_sub_i32 s8, s6, s4
	s_cmp_ge_u32 s6, s4
	s_cselect_b32 s5, s7, s5
	s_cselect_b32 s6, s8, s6
	s_add_i32 s7, s5, 1
	s_cmp_ge_u32 s6, s4
	s_cselect_b32 s35, s7, s5
	s_mul_i32 s4, s35, s4
	s_sub_i32 s36, s2, s4
	s_lshl_b32 s2, s36, 4
	s_cmp_eq_u32 s22, s2
	s_cbranch_scc1 .LBB6_89
; %bb.1:
	s_sub_i32 s34, s22, s2
	s_min_u32 s33, s34, 16
	s_lshl_b32 s2, s33, 1
	v_cmp_gt_u32_e64 s[6:7], s33, v0
	v_cmp_le_u32_e64 s[4:5], s33, v0
	v_cmp_gt_u32_e64 s[8:9], s2, v0
	v_cmp_le_u32_e32 vcc, s2, v0
	v_mov_b32_e32 v2, v0
	s_and_saveexec_b64 s[10:11], s[4:5]
	s_cbranch_execz .LBB6_7
; %bb.2:
                                        ; implicit-def: $vgpr2
	s_and_saveexec_b64 s[12:13], vcc
	s_xor_b64 s[12:13], exec, s[12:13]
; %bb.3:
	v_subrev_u32_e32 v2, s2, v0
; %bb.4:
	s_andn2_saveexec_b64 s[12:13], s[12:13]
; %bb.5:
	v_subrev_u32_e32 v2, s33, v0
; %bb.6:
	s_or_b64 exec, exec, s[12:13]
.LBB6_7:
	s_or_b64 exec, exec, s[10:11]
	s_load_dwordx4 s[24:27], s[0:1], 0x10
	s_load_dword s10, s[0:1], 0x20
	s_load_dwordx8 s[12:19], s[0:1], 0x28
	v_mov_b32_e32 v1, 0x1800
	v_cndmask_b32_e64 v1, 0, v1, s[8:9]
	v_mov_b32_e32 v3, 0x1000
	v_cndmask_b32_e64 v8, v1, v3, s[6:7]
	s_waitcnt lgkmcnt(0)
	s_ashr_i32 s11, s10, 31
	s_mul_i32 s2, s13, s3
	s_mul_hi_u32 s6, s12, s3
	s_add_i32 s7, s6, s2
	s_mul_i32 s6, s12, s3
	s_lshl_b64 s[12:13], s[10:11], 5
	s_add_u32 s2, s12, 32
	s_addc_u32 s12, s13, 0
	s_mul_i32 s12, s12, s36
	s_mul_hi_u32 s13, s2, s36
	s_add_i32 s13, s13, s12
	s_mul_i32 s12, s2, s36
	s_mul_i32 s2, s15, s35
	s_mul_hi_u32 s15, s14, s35
	s_add_i32 s15, s15, s2
	s_mul_i32 s14, s14, s35
	s_and_saveexec_b64 s[22:23], vcc
	s_xor_b64 s[22:23], exec, s[22:23]
	s_cbranch_execz .LBB6_17
; %bb.8:
	s_mul_i32 s2, s33, 3
	v_cmp_gt_u32_e32 vcc, s2, v0
	s_and_saveexec_b64 s[28:29], vcc
	s_cbranch_execz .LBB6_16
; %bb.9:
	s_cmpk_eq_i32 s20, 0x7a
	s_mov_b64 s[30:31], -1
	s_cbranch_scc1 .LBB6_13
; %bb.10:
	s_add_i32 s30, s33, -1
	s_mul_i32 s31, s33, s30
	s_lshl_b32 s42, s33, 3
	s_add_i32 s2, s33, 1
	s_lshl_b32 s31, s31, 3
	s_sub_i32 s37, 0, s42
	s_lshl_b64 s[38:39], s[14:15], 3
	s_lshl_b64 s[40:41], s[6:7], 3
	s_add_u32 s40, s38, s40
	v_lshlrev_b32_e32 v1, 3, v2
	s_addc_u32 s41, s39, s41
	s_lshl_b64 s[38:39], s[12:13], 3
	v_add3_u32 v1, s31, v1, v8
	s_mov_b32 s31, 0
	s_add_u32 s38, s40, s38
	s_addc_u32 s39, s41, s39
	s_lshl_b64 s[30:31], s[30:31], 3
	s_add_u32 s30, s42, s30
	s_addc_u32 s31, 0, s31
	s_mul_i32 s40, s30, s11
	s_mul_hi_u32 s41, s30, s10
	s_add_i32 s40, s41, s40
	s_mul_i32 s31, s31, s10
	s_add_i32 s40, s40, s31
	s_mul_i32 s30, s30, s10
	s_add_u32 s38, s38, s30
	s_addc_u32 s39, s39, s40
	s_lshl_b64 s[30:31], s[26:27], 3
	s_add_u32 s30, s38, s30
	s_addc_u32 s31, s39, s31
	s_add_u32 s30, s24, s30
	v_ashrrev_i32_e32 v3, 31, v2
	s_addc_u32 s31, s25, s31
	v_lshl_add_u64 v[4:5], v[2:3], 3, s[30:31]
	s_lshl_b64 s[30:31], s[10:11], 3
	s_sub_u32 s30, 0, s30
	s_subb_u32 s31, 0, s31
.LBB6_11:                               ; =>This Inner Loop Header: Depth=1
	global_load_dwordx2 v[6:7], v[4:5], off
	s_add_i32 s2, s2, -1
	v_lshl_add_u64 v[4:5], v[4:5], 0, s[30:31]
	s_cmp_gt_u32 s2, 1
	s_waitcnt vmcnt(0)
	ds_write_b64 v1, v[6:7]
	v_add_u32_e32 v1, s37, v1
	s_cbranch_scc1 .LBB6_11
; %bb.12:
	s_mov_b64 s[30:31], 0
.LBB6_13:
	s_and_b64 vcc, exec, s[30:31]
	s_cbranch_vccz .LBB6_16
; %bb.14:
	s_lshl_b64 s[30:31], s[6:7], 3
	s_add_u32 s2, s24, s30
	s_addc_u32 s37, s25, s31
	s_lshl_b64 s[30:31], s[26:27], 3
	s_add_u32 s2, s2, s30
	s_addc_u32 s37, s37, s31
	;; [unrolled: 3-line block ×3, first 2 shown]
	s_lshl_b64 s[30:31], s[14:15], 3
	s_add_u32 s30, s2, s30
	v_add_u32_e32 v4, s33, v2
	s_addc_u32 s31, s37, s31
	v_ashrrev_i32_e32 v5, 31, v4
	v_lshl_add_u64 v[4:5], v[4:5], 3, s[30:31]
	v_lshl_add_u32 v1, v2, 3, v8
	s_lshl_b32 s2, s33, 3
	s_lshl_b64 s[30:31], s[10:11], 3
	s_mov_b32 s37, s33
.LBB6_15:                               ; =>This Inner Loop Header: Depth=1
	global_load_dwordx2 v[6:7], v[4:5], off
	s_add_i32 s37, s37, -1
	v_lshl_add_u64 v[4:5], v[4:5], 0, s[30:31]
	s_cmp_eq_u32 s37, 0
	s_waitcnt vmcnt(0)
	ds_write_b64 v1, v[6:7]
	v_add_u32_e32 v1, s2, v1
	s_cbranch_scc0 .LBB6_15
.LBB6_16:
	s_or_b64 exec, exec, s[28:29]
.LBB6_17:
	s_andn2_saveexec_b64 s[22:23], s[22:23]
	s_cbranch_execz .LBB6_31
; %bb.18:
	v_mov_b64_e32 v[4:5], 0
	s_and_saveexec_b64 s[28:29], s[4:5]
	s_cbranch_execnz .LBB6_21
; %bb.19:
	s_or_b64 exec, exec, s[28:29]
	s_cmpk_lg_i32 s20, 0x7a
	s_mov_b64 s[28:29], -1
	s_cbranch_scc1 .LBB6_22
.LBB6_20:
	s_and_b64 vcc, exec, s[28:29]
	s_cbranch_vccnz .LBB6_27
	s_branch .LBB6_31
.LBB6_21:
	s_add_u32 s2, s10, 1
	s_addc_u32 s30, s11, 0
	s_mul_i32 s30, s30, s33
	s_mul_hi_u32 s31, s2, s33
	s_add_i32 s31, s31, s30
	s_mul_i32 s30, s2, s33
	v_mov_b64_e32 v[4:5], s[30:31]
	s_or_b64 exec, exec, s[28:29]
	s_cmpk_lg_i32 s20, 0x7a
	s_mov_b64 s[28:29], -1
	s_cbranch_scc0 .LBB6_20
.LBB6_22:
	s_add_i32 s2, s33, -1
	s_lshl_b64 s[28:29], s[14:15], 3
	s_lshl_b64 s[30:31], s[6:7], 3
	s_add_u32 s30, s28, s30
	s_addc_u32 s31, s29, s31
	s_lshl_b64 s[28:29], s[12:13], 3
	s_add_u32 s30, s30, s28
	s_addc_u32 s31, s31, s29
	s_mul_i32 s28, s11, s2
	s_mul_hi_u32 s29, s10, s2
	s_add_i32 s29, s29, s28
	s_mul_i32 s28, s10, s2
	s_lshl_b64 s[28:29], s[28:29], 3
	v_sub_u32_e32 v1, s2, v2
	s_add_u32 s2, s30, s28
	s_addc_u32 s30, s31, s29
	s_lshl_b64 s[28:29], s[26:27], 3
	s_add_u32 s28, s28, s2
	s_addc_u32 s29, s29, s30
	v_ashrrev_i32_e32 v3, 31, v2
	v_lshl_add_u64 v[6:7], v[4:5], 3, s[28:29]
	s_lshl_b64 s[28:29], s[10:11], 3
	v_lshl_add_u64 v[6:7], v[2:3], 3, v[6:7]
	s_sub_u32 s28, 0, s28
	v_lshl_add_u32 v1, v1, 3, v8
	v_lshl_add_u64 v[6:7], s[24:25], 0, v[6:7]
	s_subb_u32 s29, 0, s29
	s_lshl_b32 s2, s33, 3
	s_mov_b32 s37, s33
	s_branch .LBB6_24
.LBB6_23:                               ;   in Loop: Header=BB6_24 Depth=1
	s_or_b64 exec, exec, s[30:31]
	s_waitcnt vmcnt(0)
	ds_write_b64 v1, v[10:11]
	v_lshl_add_u64 v[6:7], v[6:7], 0, s[28:29]
	s_cmp_lt_i32 s37, 1
	v_add_u32_e32 v1, s2, v1
	s_cbranch_scc1 .LBB6_26
.LBB6_24:                               ; =>This Inner Loop Header: Depth=1
	s_add_i32 s37, s37, -1
	v_cmp_ge_i32_e32 vcc, s37, v2
	v_mov_b64_e32 v[10:11], 0
	s_and_saveexec_b64 s[30:31], vcc
	s_cbranch_execz .LBB6_23
; %bb.25:                               ;   in Loop: Header=BB6_24 Depth=1
	global_load_dwordx2 v[10:11], v[6:7], off
	s_branch .LBB6_23
.LBB6_26:
	s_branch .LBB6_31
.LBB6_27:
	s_lshl_b64 s[14:15], s[14:15], 3
	s_lshl_b64 s[6:7], s[6:7], 3
	s_add_u32 s2, s14, s6
	s_addc_u32 s14, s15, s7
	s_lshl_b64 s[6:7], s[12:13], 3
	s_add_u32 s2, s2, s6
	s_addc_u32 s12, s14, s7
	;; [unrolled: 3-line block ×3, first 2 shown]
	v_ashrrev_i32_e32 v3, 31, v2
	v_lshl_add_u64 v[4:5], v[4:5], 3, s[6:7]
	v_lshl_add_u64 v[4:5], v[2:3], 3, v[4:5]
	v_lshl_add_u32 v1, v2, 3, v8
	v_lshl_add_u64 v[4:5], s[24:25], 0, v[4:5]
	s_lshl_b64 s[6:7], s[10:11], 3
	s_lshl_b32 s2, s33, 3
	s_mov_b32 s12, 0
	s_branch .LBB6_29
.LBB6_28:                               ;   in Loop: Header=BB6_29 Depth=1
	s_or_b64 exec, exec, s[10:11]
	s_add_i32 s12, s12, 1
	s_waitcnt vmcnt(0)
	ds_write_b64 v1, v[6:7]
	v_lshl_add_u64 v[4:5], v[4:5], 0, s[6:7]
	s_cmp_eq_u32 s33, s12
	v_add_u32_e32 v1, s2, v1
	s_cbranch_scc1 .LBB6_31
.LBB6_29:                               ; =>This Inner Loop Header: Depth=1
	v_cmp_le_i32_e32 vcc, s12, v2
	v_mov_b64_e32 v[6:7], 0
	s_and_saveexec_b64 s[10:11], vcc
	s_cbranch_execz .LBB6_28
; %bb.30:                               ;   in Loop: Header=BB6_29 Depth=1
	global_load_dwordx2 v[6:7], v[4:5], off
	s_branch .LBB6_28
.LBB6_31:
	s_or_b64 exec, exec, s[22:23]
	s_waitcnt lgkmcnt(0)
	s_barrier
	s_and_saveexec_b64 s[6:7], s[8:9]
	s_cbranch_execz .LBB6_37
; %bb.32:
	s_add_i32 s2, s33, 1
	v_mul_i32_i24_e32 v1, s2, v2
	s_cmpk_eq_i32 s21, 0x84
	v_lshl_add_u32 v1, v1, 3, v8
	v_mov_b64_e32 v[6:7], 1.0
	s_cbranch_scc1 .LBB6_36
; %bb.33:
	ds_read_b64 v[4:5], v1
	v_mov_b64_e32 v[6:7], 1.0
	s_waitcnt lgkmcnt(0)
	v_cmp_neq_f64_e32 vcc, 0, v[4:5]
	s_and_saveexec_b64 s[10:11], vcc
	s_cbranch_execz .LBB6_35
; %bb.34:
	v_div_scale_f64 v[6:7], s[12:13], v[4:5], v[4:5], 1.0
	v_rcp_f64_e32 v[10:11], v[6:7]
	v_div_scale_f64 v[12:13], vcc, 1.0, v[4:5], 1.0
	v_fma_f64 v[14:15], -v[6:7], v[10:11], 1.0
	v_fmac_f64_e32 v[10:11], v[10:11], v[14:15]
	v_fma_f64 v[14:15], -v[6:7], v[10:11], 1.0
	v_fmac_f64_e32 v[10:11], v[10:11], v[14:15]
	v_mul_f64 v[14:15], v[12:13], v[10:11]
	v_fma_f64 v[6:7], -v[6:7], v[14:15], v[12:13]
	v_div_fmas_f64 v[6:7], v[6:7], v[10:11], v[14:15]
	v_div_fixup_f64 v[6:7], v[6:7], v[4:5], 1.0
.LBB6_35:
	s_or_b64 exec, exec, s[10:11]
.LBB6_36:
	ds_write_b64 v1, v[6:7]
.LBB6_37:
	s_or_b64 exec, exec, s[6:7]
	s_waitcnt lgkmcnt(0)
	s_barrier
	s_and_saveexec_b64 s[6:7], s[8:9]
	s_cbranch_execz .LBB6_49
; %bb.38:
	s_add_i32 s2, s33, 1
	v_lshlrev_b32_e32 v4, 3, v2
	v_mul_i32_i24_e32 v3, s2, v2
	s_lshl_b32 s2, s33, 3
	v_add_u32_e32 v1, v8, v4
	v_lshl_add_u32 v3, v3, 3, v8
	v_add_u32_e32 v6, 8, v8
	s_add_i32 s12, s2, 8
	v_add3_u32 v7, v4, s2, v8
	s_mov_b32 s13, 0
	s_branch .LBB6_40
.LBB6_39:                               ;   in Loop: Header=BB6_40 Depth=1
	v_add_u32_e32 v6, s12, v6
	s_cmp_eq_u32 s13, s33
	v_add_u32_e32 v7, s2, v7
	s_cbranch_scc1 .LBB6_49
.LBB6_40:                               ; =>This Loop Header: Depth=1
                                        ;     Child Loop BB6_45 Depth 2
	v_cmp_lt_i32_e32 vcc, s13, v2
	s_mul_i32 s14, s13, s33
	v_mov_b64_e32 v[4:5], 0
	s_and_saveexec_b64 s[10:11], vcc
	s_cbranch_execz .LBB6_42
; %bb.41:                               ;   in Loop: Header=BB6_40 Depth=1
	s_lshl_b32 s15, s13, 3
	s_lshl_b32 s21, s14, 3
	s_add_i32 s15, s21, s15
	v_add_u32_e32 v4, s21, v1
	v_add_u32_e32 v9, s15, v8
	ds_read_b64 v[4:5], v4
	ds_read_b64 v[10:11], v9
	s_waitcnt lgkmcnt(0)
	v_fma_f64 v[4:5], v[4:5], v[10:11], 0
.LBB6_42:                               ;   in Loop: Header=BB6_40 Depth=1
	s_or_b64 exec, exec, s[10:11]
	s_add_i32 s13, s13, 1
	s_cmp_ge_u32 s13, s33
	s_cbranch_scc1 .LBB6_39
; %bb.43:                               ;   in Loop: Header=BB6_40 Depth=1
	v_lshl_add_u32 v9, s14, 3, v1
	v_mov_b32_e32 v10, v7
	v_mov_b32_e32 v11, v6
	s_mov_b32 s14, s13
	s_branch .LBB6_45
.LBB6_44:                               ;   in Loop: Header=BB6_45 Depth=2
	s_or_b64 exec, exec, s[10:11]
	s_add_i32 s14, s14, 1
	v_add_u32_e32 v11, 8, v11
	s_cmp_eq_u32 s33, s14
	v_add_u32_e32 v10, s2, v10
	s_cbranch_scc1 .LBB6_39
.LBB6_45:                               ;   Parent Loop BB6_40 Depth=1
                                        ; =>  This Inner Loop Header: Depth=2
	v_cmp_eq_u32_e32 vcc, s14, v2
	s_and_saveexec_b64 s[10:11], vcc
	s_cbranch_execz .LBB6_47
; %bb.46:                               ;   in Loop: Header=BB6_45 Depth=2
	ds_read_b64 v[12:13], v3
	v_add_f64 v[14:15], -v[4:5], 0
	s_waitcnt lgkmcnt(0)
	v_mul_f64 v[12:13], v[14:15], v[12:13]
	ds_write_b64 v9, v[12:13]
.LBB6_47:                               ;   in Loop: Header=BB6_45 Depth=2
	s_or_b64 exec, exec, s[10:11]
	v_cmp_lt_i32_e32 vcc, s14, v2
	s_and_saveexec_b64 s[10:11], vcc
	s_cbranch_execz .LBB6_44
; %bb.48:                               ;   in Loop: Header=BB6_45 Depth=2
	ds_read_b64 v[12:13], v10
	ds_read_b64 v[14:15], v11
	s_waitcnt lgkmcnt(0)
	v_fmac_f64_e32 v[4:5], v[12:13], v[14:15]
	s_branch .LBB6_44
.LBB6_49:
	s_or_b64 exec, exec, s[6:7]
	s_and_b32 s2, s33, 0xffff
	v_cvt_f32_u32_e32 v1, s2
	v_cvt_f32_ubyte0_e32 v3, v0
	s_cmpk_lg_i32 s20, 0x7a
	s_cselect_b64 s[10:11], -1, 0
	v_rcp_iflag_f32_e32 v4, v1
	s_mul_i32 s2, s33, s33
	v_cmp_gt_u32_e64 s[6:7], s2, v0
	s_mov_b64 s[12:13], -1
	v_mul_f32_e32 v4, v3, v4
	v_trunc_f32_e32 v4, v4
	v_cvt_u32_f32_e32 v5, v4
	v_fma_f32 v3, -v4, v1, v3
	v_cmp_ge_f32_e64 vcc, |v3|, v1
	s_waitcnt lgkmcnt(0)
	s_barrier
	v_addc_co_u32_e32 v1, vcc, 0, v5, vcc
	v_and_b32_e32 v6, 0xffff, v1
	v_mul_lo_u16_e32 v1, s33, v1
	v_sub_u16_e32 v3, v0, v1
	s_and_b64 vcc, exec, s[10:11]
	s_cbranch_vccz .LBB6_55
; %bb.50:
	s_and_saveexec_b64 s[12:13], s[6:7]
	s_cbranch_execz .LBB6_54
; %bb.51:
	v_lshlrev_b32_e32 v4, 7, v6
	v_lshlrev_b32_e32 v5, 3, v3
	v_sub_u32_e32 v7, 0x1ff8, v4
	v_mov_b64_e32 v[0:1], 0
	s_mov_b32 s2, -1
	s_mov_b64 s[14:15], 0
.LBB6_52:                               ; =>This Inner Loop Header: Depth=1
	ds_read_b64 v[10:11], v5
	ds_read_b64 v[12:13], v7
	s_add_i32 s2, s2, 1
	v_cmp_ge_u32_e32 vcc, s2, v6
	v_add_u32_e32 v7, -8, v7
	v_add_u32_e32 v5, 0x80, v5
	s_or_b64 s[14:15], vcc, s[14:15]
	s_waitcnt lgkmcnt(0)
	v_fmac_f64_e32 v[0:1], v[10:11], v[12:13]
	s_andn2_b64 exec, exec, s[14:15]
	s_cbranch_execnz .LBB6_52
; %bb.53:
	s_or_b64 exec, exec, s[14:15]
	v_lshl_add_u32 v4, v3, 3, v4
	ds_write_b64 v4, v[0:1] offset:2048
.LBB6_54:
	s_or_b64 exec, exec, s[12:13]
	s_mov_b64 s[12:13], 0
.LBB6_55:
	s_andn2_b64 vcc, exec, s[12:13]
	s_cbranch_vccnz .LBB6_65
; %bb.56:
	s_and_saveexec_b64 s[12:13], s[6:7]
	s_cbranch_execz .LBB6_64
; %bb.57:
	v_cmp_lt_u16_e32 vcc, 15, v6
	v_lshlrev_b32_e32 v4, 7, v6
	s_and_saveexec_b64 s[14:15], vcc
	s_xor_b64 s[14:15], exec, s[14:15]
; %bb.58:
	v_lshlrev_b32_e32 v4, 7, v6
; %bb.59:
	s_or_saveexec_b64 s[14:15], s[14:15]
	v_mov_b64_e32 v[0:1], 0
	s_xor_b64 exec, exec, s[14:15]
	s_cbranch_execz .LBB6_63
; %bb.60:
	s_movk_i32 s2, 0x88
	v_mov_b32_e32 v0, 0x1000
	v_add_u32_e32 v5, -1, v6
	v_mad_u32_u24 v7, v6, s2, v0
	v_lshl_add_u32 v9, v3, 3, v4
	v_mov_b64_e32 v[0:1], 0
	s_mov_b64 s[20:21], 0
.LBB6_61:                               ; =>This Inner Loop Header: Depth=1
	ds_read_b64 v[10:11], v9
	ds_read_b64 v[12:13], v7
	v_add_u32_e32 v5, 1, v5
	v_cmp_lt_u32_e32 vcc, 14, v5
	v_add_u32_e32 v7, 8, v7
	v_add_u32_e32 v9, 0x80, v9
	s_or_b64 s[20:21], vcc, s[20:21]
	s_waitcnt lgkmcnt(0)
	v_fmac_f64_e32 v[0:1], v[10:11], v[12:13]
	s_andn2_b64 exec, exec, s[20:21]
	s_cbranch_execnz .LBB6_61
; %bb.62:
	s_or_b64 exec, exec, s[20:21]
.LBB6_63:
	s_or_b64 exec, exec, s[14:15]
	v_lshl_add_u32 v4, v3, 3, v4
	ds_write_b64 v4, v[0:1] offset:2048
.LBB6_64:
	s_or_b64 exec, exec, s[12:13]
.LBB6_65:
	s_load_dword s12, s[0:1], 0x48
	s_load_dwordx4 s[20:23], s[0:1], 0x50
	s_waitcnt lgkmcnt(0)
	s_barrier
	s_ashr_i32 s13, s12, 31
	s_mul_i32 s1, s21, s3
	s_mul_hi_u32 s2, s20, s3
	s_mul_i32 s0, s20, s3
	s_add_i32 s1, s2, s1
	s_lshl_b64 s[14:15], s[0:1], 3
	s_add_u32 s0, s16, s14
	s_addc_u32 s1, s17, s15
	s_lshl_b64 s[2:3], s[18:19], 3
	s_add_u32 s20, s0, s2
	s_addc_u32 s21, s1, s3
	;; [unrolled: 3-line block ×3, first 2 shown]
	s_mul_i32 s1, s1, s36
	s_mul_hi_u32 s18, s0, s36
	s_add_i32 s1, s18, s1
	s_mul_i32 s0, s0, s36
	s_lshl_b64 s[18:19], s[0:1], 3
	s_add_u32 s24, s20, s18
	s_mul_i32 s0, s23, s35
	s_mul_hi_u32 s1, s22, s35
	s_addc_u32 s25, s21, s19
	s_add_i32 s1, s1, s0
	s_mul_i32 s0, s22, s35
	s_lshl_b64 s[20:21], s[0:1], 3
	s_add_u32 s0, s24, s20
	s_addc_u32 s1, s25, s21
	s_mov_b64 s[22:23], -1
	s_and_b64 vcc, exec, s[10:11]
	s_cbranch_vccnz .LBB6_68
; %bb.66:
	s_andn2_b64 vcc, exec, s[22:23]
	s_cbranch_vccz .LBB6_73
.LBB6_67:
	s_and_saveexec_b64 s[6:7], s[8:9]
	s_cbranch_execnz .LBB6_78
	s_branch .LBB6_89
.LBB6_68:
	s_and_saveexec_b64 s[22:23], s[6:7]
	s_cbranch_execz .LBB6_72
; %bb.69:
	v_mul_u32_u24_e32 v0, s33, v6
	v_lshlrev_b32_e32 v4, 3, v0
	v_lshlrev_b32_e32 v0, 3, v3
	s_movk_i32 s24, 0x800
	v_add3_u32 v7, v4, v0, s24
	s_lshl_b32 s24, s33, 3
	v_sub_u32_e32 v4, s24, v0
	v_mul_i32_i24_e32 v4, s33, v4
	v_sub_u32_e32 v4, v4, v0
	v_add_u32_e32 v1, -1, v3
	v_add_u32_e32 v9, 0xff8, v4
	s_sub_i32 s26, 0, s24
	v_mov_b64_e32 v[4:5], 0
	s_mov_b64 s[24:25], 0
.LBB6_70:                               ; =>This Inner Loop Header: Depth=1
	ds_read_b64 v[10:11], v9
	ds_read_b64 v[12:13], v7
	v_add_u32_e32 v1, 1, v1
	v_cmp_lt_u32_e32 vcc, 14, v1
	v_add_u32_e32 v7, 8, v7
	v_add_u32_e32 v9, s26, v9
	s_or_b64 s[24:25], vcc, s[24:25]
	s_waitcnt lgkmcnt(0)
	v_fma_f64 v[4:5], -v[10:11], v[12:13], v[4:5]
	s_andn2_b64 exec, exec, s[24:25]
	s_cbranch_execnz .LBB6_70
; %bb.71:
	s_or_b64 exec, exec, s[24:25]
	s_mul_hi_i32 s25, s33, s12
	s_mul_i32 s24, s33, s12
	s_lshl_b64 s[24:25], s[24:25], 3
	s_add_u32 s24, s0, s24
	s_addc_u32 s25, s1, s25
	v_mov_b32_e32 v1, 0
	v_mad_i64_i32 v[10:11], s[26:27], v6, s12, 0
	v_lshl_add_u64 v[0:1], s[24:25], 0, v[0:1]
	v_lshl_add_u64 v[0:1], v[10:11], 3, v[0:1]
	global_store_dwordx2 v[0:1], v[4:5], off
.LBB6_72:
	s_or_b64 exec, exec, s[22:23]
	s_cbranch_execnz .LBB6_67
.LBB6_73:
	s_and_saveexec_b64 s[22:23], s[6:7]
	s_cbranch_execz .LBB6_77
; %bb.74:
	v_mov_b32_e32 v0, 0x1800
	v_lshl_add_u32 v4, v3, 3, v0
	v_mul_u32_u24_e32 v0, s33, v6
	v_mov_b32_e32 v1, 0x800
	v_lshl_add_u32 v5, v0, 3, v1
	s_lshl_b32 s24, s33, 3
	v_mov_b64_e32 v[0:1], 0
	s_mov_b32 s25, -1
	s_mov_b64 s[6:7], 0
.LBB6_75:                               ; =>This Inner Loop Header: Depth=1
	ds_read_b64 v[10:11], v4
	ds_read_b64 v[12:13], v5
	s_add_i32 s25, s25, 1
	v_cmp_ge_u32_e32 vcc, s25, v3
	v_add_u32_e32 v5, 8, v5
	v_add_u32_e32 v4, s24, v4
	s_or_b64 s[6:7], vcc, s[6:7]
	s_waitcnt lgkmcnt(0)
	v_fma_f64 v[0:1], -v[10:11], v[12:13], v[0:1]
	s_andn2_b64 exec, exec, s[6:7]
	s_cbranch_execnz .LBB6_75
; %bb.76:
	s_or_b64 exec, exec, s[6:7]
	v_mad_i64_i32 v[4:5], s[6:7], v6, s12, 0
	v_lshl_add_u64 v[4:5], v[4:5], 3, s[0:1]
	v_add_lshl_u32 v6, s33, v3, 3
	v_mov_b32_e32 v7, 0
	v_lshl_add_u64 v[4:5], v[4:5], 0, v[6:7]
	global_store_dwordx2 v[4:5], v[0:1], off
.LBB6_77:
	s_or_b64 exec, exec, s[22:23]
	s_and_saveexec_b64 s[6:7], s[8:9]
	s_cbranch_execz .LBB6_89
.LBB6_78:
	v_mov_b64_e32 v[0:1], 0
	s_and_saveexec_b64 s[6:7], s[4:5]
	s_cbranch_execnz .LBB6_81
; %bb.79:
	s_or_b64 exec, exec, s[6:7]
	s_mov_b64 s[4:5], -1
	s_and_b64 vcc, exec, s[10:11]
	s_cbranch_vccnz .LBB6_82
.LBB6_80:
	s_andn2_b64 vcc, exec, s[4:5]
	s_cbranch_vccz .LBB6_86
	s_branch .LBB6_89
.LBB6_81:
	s_add_u32 s4, s12, 1
	s_addc_u32 s5, s13, 0
	s_mul_i32 s5, s5, s33
	s_mul_hi_u32 s8, s4, s33
	s_add_i32 s5, s8, s5
	s_mul_i32 s4, s4, s33
	v_mov_b64_e32 v[0:1], s[4:5]
	s_or_b64 exec, exec, s[6:7]
	s_mov_b64 s[4:5], -1
	s_and_b64 vcc, exec, s[10:11]
	s_cbranch_vccz .LBB6_80
.LBB6_82:
	v_cmp_gt_i32_e32 vcc, s33, v2
	s_and_saveexec_b64 s[4:5], vcc
	s_cbranch_execz .LBB6_85
; %bb.83:
	s_cmp_lt_u32 s34, 16
	s_cselect_b32 s7, s34, 16
	s_cselect_b32 s6, 0, 0
	s_add_u32 s8, s7, -1
	s_addc_u32 s6, s6, -1
	s_mul_i32 s7, s8, s13
	s_mul_hi_u32 s9, s8, s12
	s_add_i32 s7, s9, s7
	s_mul_i32 s6, s6, s12
	s_add_i32 s7, s7, s6
	s_mul_i32 s6, s8, s12
	s_lshl_b64 s[6:7], s[6:7], 3
	s_add_u32 s6, s6, s20
	s_addc_u32 s7, s7, s21
	s_add_u32 s6, s6, s14
	s_addc_u32 s7, s7, s15
	;; [unrolled: 2-line block ×3, first 2 shown]
	s_add_u32 s2, s2, s6
	v_xad_u32 v3, v2, -1, s33
	s_addc_u32 s3, s3, s7
	v_lshl_add_u32 v6, v3, 3, v8
	v_ashrrev_i32_e32 v3, 31, v2
	v_lshl_add_u64 v[4:5], v[0:1], 3, s[2:3]
	s_lshl_b64 s[6:7], s[12:13], 3
	v_lshl_add_u64 v[4:5], v[2:3], 3, v[4:5]
	s_sub_u32 s6, 0, s6
	v_lshl_add_u64 v[4:5], s[16:17], 0, v[4:5]
	s_mov_b64 s[2:3], 0
	s_subb_u32 s7, 0, s7
	s_lshl_b32 s8, s33, 3
	s_mov_b32 s9, s33
.LBB6_84:                               ; =>This Inner Loop Header: Depth=1
	ds_read_b64 v[10:11], v6
	s_add_i32 s9, s9, -1
	v_cmp_le_i32_e32 vcc, s9, v2
	v_add_u32_e32 v6, s8, v6
	s_or_b64 s[2:3], vcc, s[2:3]
	s_waitcnt lgkmcnt(0)
	global_store_dwordx2 v[4:5], v[10:11], off
	v_lshl_add_u64 v[4:5], v[4:5], 0, s[6:7]
	s_andn2_b64 exec, exec, s[2:3]
	s_cbranch_execnz .LBB6_84
.LBB6_85:
	s_or_b64 exec, exec, s[4:5]
	s_cbranch_execnz .LBB6_89
.LBB6_86:
	v_cmp_lt_i32_e32 vcc, -1, v2
	s_and_b64 exec, exec, vcc
	s_cbranch_execz .LBB6_89
; %bb.87:
	v_mov_b32_e32 v3, 0
	v_lshl_add_u64 v[0:1], v[0:1], 3, s[0:1]
	v_lshl_add_u32 v4, v2, 3, v8
	v_lshl_add_u64 v[0:1], v[2:3], 3, v[0:1]
	v_add_u32_e32 v2, 1, v2
	s_lshl_b64 s[0:1], s[12:13], 3
	s_lshl_b32 s4, s33, 3
	s_mov_b64 s[2:3], 0
.LBB6_88:                               ; =>This Inner Loop Header: Depth=1
	ds_read_b64 v[6:7], v4
	v_add_u32_e32 v2, -1, v2
	v_cmp_eq_u32_e32 vcc, 0, v2
	v_add_u32_e32 v4, s4, v4
	s_or_b64 s[2:3], vcc, s[2:3]
	s_waitcnt lgkmcnt(0)
	global_store_dwordx2 v[0:1], v[6:7], off
	v_lshl_add_u64 v[0:1], v[0:1], 0, s[0:1]
	s_andn2_b64 exec, exec, s[2:3]
	s_cbranch_execnz .LBB6_88
.LBB6_89:
	s_endpgm
	.section	.rodata,"a",@progbits
	.p2align	6, 0x0
	.amdhsa_kernel _ZL29rocblas_trtri_diagonal_kernelILi16EdPKdPdEv13rocblas_fill_17rocblas_diagonal_iT1_lillT2_lilli
		.amdhsa_group_segment_fixed_size 8192
		.amdhsa_private_segment_fixed_size 0
		.amdhsa_kernarg_size 100
		.amdhsa_user_sgpr_count 2
		.amdhsa_user_sgpr_dispatch_ptr 0
		.amdhsa_user_sgpr_queue_ptr 0
		.amdhsa_user_sgpr_kernarg_segment_ptr 1
		.amdhsa_user_sgpr_dispatch_id 0
		.amdhsa_user_sgpr_kernarg_preload_length 0
		.amdhsa_user_sgpr_kernarg_preload_offset 0
		.amdhsa_user_sgpr_private_segment_size 0
		.amdhsa_uses_dynamic_stack 0
		.amdhsa_enable_private_segment 0
		.amdhsa_system_sgpr_workgroup_id_x 1
		.amdhsa_system_sgpr_workgroup_id_y 0
		.amdhsa_system_sgpr_workgroup_id_z 1
		.amdhsa_system_sgpr_workgroup_info 0
		.amdhsa_system_vgpr_workitem_id 0
		.amdhsa_next_free_vgpr 16
		.amdhsa_next_free_sgpr 43
		.amdhsa_accum_offset 16
		.amdhsa_reserve_vcc 1
		.amdhsa_float_round_mode_32 0
		.amdhsa_float_round_mode_16_64 0
		.amdhsa_float_denorm_mode_32 3
		.amdhsa_float_denorm_mode_16_64 3
		.amdhsa_dx10_clamp 1
		.amdhsa_ieee_mode 1
		.amdhsa_fp16_overflow 0
		.amdhsa_tg_split 0
		.amdhsa_exception_fp_ieee_invalid_op 0
		.amdhsa_exception_fp_denorm_src 0
		.amdhsa_exception_fp_ieee_div_zero 0
		.amdhsa_exception_fp_ieee_overflow 0
		.amdhsa_exception_fp_ieee_underflow 0
		.amdhsa_exception_fp_ieee_inexact 0
		.amdhsa_exception_int_div_zero 0
	.end_amdhsa_kernel
	.section	.text._ZL29rocblas_trtri_diagonal_kernelILi16EdPKdPdEv13rocblas_fill_17rocblas_diagonal_iT1_lillT2_lilli,"axG",@progbits,_ZL29rocblas_trtri_diagonal_kernelILi16EdPKdPdEv13rocblas_fill_17rocblas_diagonal_iT1_lillT2_lilli,comdat
.Lfunc_end6:
	.size	_ZL29rocblas_trtri_diagonal_kernelILi16EdPKdPdEv13rocblas_fill_17rocblas_diagonal_iT1_lillT2_lilli, .Lfunc_end6-_ZL29rocblas_trtri_diagonal_kernelILi16EdPKdPdEv13rocblas_fill_17rocblas_diagonal_iT1_lillT2_lilli
                                        ; -- End function
	.set _ZL29rocblas_trtri_diagonal_kernelILi16EdPKdPdEv13rocblas_fill_17rocblas_diagonal_iT1_lillT2_lilli.num_vgpr, 16
	.set _ZL29rocblas_trtri_diagonal_kernelILi16EdPKdPdEv13rocblas_fill_17rocblas_diagonal_iT1_lillT2_lilli.num_agpr, 0
	.set _ZL29rocblas_trtri_diagonal_kernelILi16EdPKdPdEv13rocblas_fill_17rocblas_diagonal_iT1_lillT2_lilli.numbered_sgpr, 43
	.set _ZL29rocblas_trtri_diagonal_kernelILi16EdPKdPdEv13rocblas_fill_17rocblas_diagonal_iT1_lillT2_lilli.num_named_barrier, 0
	.set _ZL29rocblas_trtri_diagonal_kernelILi16EdPKdPdEv13rocblas_fill_17rocblas_diagonal_iT1_lillT2_lilli.private_seg_size, 0
	.set _ZL29rocblas_trtri_diagonal_kernelILi16EdPKdPdEv13rocblas_fill_17rocblas_diagonal_iT1_lillT2_lilli.uses_vcc, 1
	.set _ZL29rocblas_trtri_diagonal_kernelILi16EdPKdPdEv13rocblas_fill_17rocblas_diagonal_iT1_lillT2_lilli.uses_flat_scratch, 0
	.set _ZL29rocblas_trtri_diagonal_kernelILi16EdPKdPdEv13rocblas_fill_17rocblas_diagonal_iT1_lillT2_lilli.has_dyn_sized_stack, 0
	.set _ZL29rocblas_trtri_diagonal_kernelILi16EdPKdPdEv13rocblas_fill_17rocblas_diagonal_iT1_lillT2_lilli.has_recursion, 0
	.set _ZL29rocblas_trtri_diagonal_kernelILi16EdPKdPdEv13rocblas_fill_17rocblas_diagonal_iT1_lillT2_lilli.has_indirect_call, 0
	.section	.AMDGPU.csdata,"",@progbits
; Kernel info:
; codeLenInByte = 3028
; TotalNumSgprs: 49
; NumVgprs: 16
; NumAgprs: 0
; TotalNumVgprs: 16
; ScratchSize: 0
; MemoryBound: 0
; FloatMode: 240
; IeeeMode: 1
; LDSByteSize: 8192 bytes/workgroup (compile time only)
; SGPRBlocks: 6
; VGPRBlocks: 1
; NumSGPRsForWavesPerEU: 49
; NumVGPRsForWavesPerEU: 16
; AccumOffset: 16
; Occupancy: 8
; WaveLimiterHint : 0
; COMPUTE_PGM_RSRC2:SCRATCH_EN: 0
; COMPUTE_PGM_RSRC2:USER_SGPR: 2
; COMPUTE_PGM_RSRC2:TRAP_HANDLER: 0
; COMPUTE_PGM_RSRC2:TGID_X_EN: 1
; COMPUTE_PGM_RSRC2:TGID_Y_EN: 0
; COMPUTE_PGM_RSRC2:TGID_Z_EN: 1
; COMPUTE_PGM_RSRC2:TIDIG_COMP_CNT: 0
; COMPUTE_PGM_RSRC3_GFX90A:ACCUM_OFFSET: 3
; COMPUTE_PGM_RSRC3_GFX90A:TG_SPLIT: 0
	.section	.text._ZL30rocblas_trtri_remainder_kernelILi16EdPKdPdEv13rocblas_fill_17rocblas_diagonal_iT1_lillT2_lilli,"axG",@progbits,_ZL30rocblas_trtri_remainder_kernelILi16EdPKdPdEv13rocblas_fill_17rocblas_diagonal_iT1_lillT2_lilli,comdat
	.globl	_ZL30rocblas_trtri_remainder_kernelILi16EdPKdPdEv13rocblas_fill_17rocblas_diagonal_iT1_lillT2_lilli ; -- Begin function _ZL30rocblas_trtri_remainder_kernelILi16EdPKdPdEv13rocblas_fill_17rocblas_diagonal_iT1_lillT2_lilli
	.p2align	8
	.type	_ZL30rocblas_trtri_remainder_kernelILi16EdPKdPdEv13rocblas_fill_17rocblas_diagonal_iT1_lillT2_lilli,@function
_ZL30rocblas_trtri_remainder_kernelILi16EdPKdPdEv13rocblas_fill_17rocblas_diagonal_iT1_lillT2_lilli: ; @_ZL30rocblas_trtri_remainder_kernelILi16EdPKdPdEv13rocblas_fill_17rocblas_diagonal_iT1_lillT2_lilli
; %bb.0:
	s_load_dwordx4 s[16:19], s[0:1], 0x0
	s_waitcnt lgkmcnt(0)
	s_cmp_lt_i32 s18, 1
	s_cbranch_scc1 .LBB7_36
; %bb.1:
	s_load_dwordx8 s[8:15], s[0:1], 0x28
	v_cmp_le_u32_e64 s[4:5], s18, v0
	v_cmp_gt_u32_e64 s[6:7], s18, v0
	s_and_saveexec_b64 s[24:25], s[6:7]
	s_cbranch_execz .LBB7_9
; %bb.2:
	s_load_dwordx4 s[20:23], s[0:1], 0x10
	s_load_dword s26, s[0:1], 0x20
	s_waitcnt lgkmcnt(0)
	s_mul_i32 s9, s9, s3
	s_mul_hi_u32 s19, s8, s3
	s_add_i32 s9, s19, s9
	s_mul_i32 s11, s11, s2
	s_mul_hi_u32 s19, s10, s2
	s_add_i32 s11, s19, s11
	s_mul_i32 s8, s8, s3
	s_mul_i32 s10, s10, s2
	s_cmpk_lg_i32 s16, 0x7a
	s_mov_b64 s[28:29], -1
	s_cbranch_scc0 .LBB7_6
; %bb.3:
	s_add_i32 s33, s18, -1
	s_ashr_i32 s27, s26, 31
	s_lshl_b32 s19, s18, 3
	s_lshl_b64 s[28:29], s[10:11], 3
	s_lshl_b64 s[30:31], s[8:9], 3
	s_add_u32 s30, s28, s30
	s_addc_u32 s31, s29, s31
	s_mul_i32 s28, s27, s33
	s_mul_hi_u32 s29, s26, s33
	s_add_i32 s29, s29, s28
	s_mul_i32 s28, s26, s33
	s_lshl_b64 s[28:29], s[28:29], 3
	s_add_u32 s30, s30, s28
	s_addc_u32 s31, s31, s29
	s_lshl_b64 s[28:29], s[22:23], 3
	s_add_u32 s28, s30, s28
	s_addc_u32 s29, s31, s29
	s_add_u32 s28, s20, s28
	s_addc_u32 s29, s21, s29
	s_lshl_b64 s[30:31], s[26:27], 3
	v_sub_u32_e32 v1, s33, v0
	v_lshlrev_b32_e32 v2, 3, v0
	v_mov_b32_e32 v3, 0
	s_sub_u32 s30, 0, s30
	v_lshlrev_b32_e32 v1, 3, v1
	v_lshl_add_u64 v[2:3], s[28:29], 0, v[2:3]
	s_mov_b64 s[28:29], 0
	s_subb_u32 s31, 0, s31
	s_mov_b32 s27, s18
.LBB7_4:                                ; =>This Inner Loop Header: Depth=1
	global_load_dwordx2 v[4:5], v[2:3], off
	s_add_i32 s27, s27, -1
	v_cmp_le_u32_e32 vcc, s27, v0
	v_lshl_add_u64 v[2:3], v[2:3], 0, s[30:31]
	s_or_b64 s[28:29], vcc, s[28:29]
	s_waitcnt vmcnt(0)
	ds_write_b64 v1, v[4:5]
	v_add_u32_e32 v1, s19, v1
	s_andn2_b64 exec, exec, s[28:29]
	s_cbranch_execnz .LBB7_4
; %bb.5:
	s_or_b64 exec, exec, s[28:29]
	s_mov_b64 s[28:29], 0
.LBB7_6:
	s_and_b64 vcc, exec, s[28:29]
	s_cbranch_vccz .LBB7_9
; %bb.7:
	s_lshl_b64 s[8:9], s[8:9], 3
	s_add_u32 s19, s20, s8
	s_addc_u32 s20, s21, s9
	s_lshl_b64 s[8:9], s[22:23], 3
	s_add_u32 s19, s19, s8
	s_addc_u32 s20, s20, s9
	;; [unrolled: 3-line block ×3, first 2 shown]
	s_ashr_i32 s27, s26, 31
	v_lshlrev_b32_e32 v2, 3, v0
	v_mov_b32_e32 v3, 0
	v_lshl_add_u64 v[4:5], s[8:9], 0, v[2:3]
	v_add_u32_e32 v1, 1, v0
	s_lshl_b32 s19, s18, 3
	s_lshl_b64 s[8:9], s[26:27], 3
	s_mov_b64 s[10:11], 0
.LBB7_8:                                ; =>This Inner Loop Header: Depth=1
	global_load_dwordx2 v[6:7], v[4:5], off
	v_add_u32_e32 v1, -1, v1
	v_cmp_eq_u32_e32 vcc, 0, v1
	v_lshl_add_u64 v[4:5], v[4:5], 0, s[8:9]
	s_or_b64 s[10:11], vcc, s[10:11]
	s_waitcnt vmcnt(0)
	ds_write_b64 v2, v[6:7]
	v_add_u32_e32 v2, s19, v2
	s_andn2_b64 exec, exec, s[10:11]
	s_cbranch_execnz .LBB7_8
.LBB7_9:
	s_or_b64 exec, exec, s[24:25]
	s_waitcnt lgkmcnt(0)
	s_barrier
                                        ; implicit-def: $vgpr2
	s_and_saveexec_b64 s[8:9], s[4:5]
	s_xor_b64 s[4:5], exec, s[8:9]
; %bb.10:
	v_mad_u64_u32 v[2:3], s[8:9], v0, s18, v[0:1]
; %bb.11:
	s_andn2_saveexec_b64 s[4:5], s[4:5]
	s_cbranch_execz .LBB7_17
; %bb.12:
	v_mad_u64_u32 v[2:3], s[8:9], v0, s18, v[0:1]
	s_cmpk_eq_i32 s17, 0x84
	v_lshlrev_b32_e32 v1, 3, v2
	v_mov_b64_e32 v[6:7], 1.0
	s_cbranch_scc1 .LBB7_16
; %bb.13:
	ds_read_b64 v[4:5], v1
	v_mov_b64_e32 v[6:7], 1.0
	s_waitcnt lgkmcnt(0)
	v_cmp_neq_f64_e32 vcc, 0, v[4:5]
	s_and_saveexec_b64 s[8:9], vcc
	s_cbranch_execz .LBB7_15
; %bb.14:
	v_div_scale_f64 v[6:7], s[10:11], v[4:5], v[4:5], 1.0
	v_rcp_f64_e32 v[8:9], v[6:7]
	v_div_scale_f64 v[10:11], vcc, 1.0, v[4:5], 1.0
	v_fma_f64 v[12:13], -v[6:7], v[8:9], 1.0
	v_fmac_f64_e32 v[8:9], v[8:9], v[12:13]
	v_fma_f64 v[12:13], -v[6:7], v[8:9], 1.0
	v_fmac_f64_e32 v[8:9], v[8:9], v[12:13]
	v_mul_f64 v[12:13], v[10:11], v[8:9]
	v_fma_f64 v[6:7], -v[6:7], v[12:13], v[10:11]
	v_div_fmas_f64 v[6:7], v[6:7], v[8:9], v[12:13]
	v_div_fixup_f64 v[6:7], v[6:7], v[4:5], 1.0
.LBB7_15:
	s_or_b64 exec, exec, s[8:9]
.LBB7_16:
	ds_write_b64 v1, v[6:7]
.LBB7_17:
	s_or_b64 exec, exec, s[4:5]
	v_lshlrev_b32_e32 v1, 3, v0
	s_lshl_b32 s10, s18, 3
	v_lshlrev_b32_e32 v4, 3, v2
	s_mov_b32 s8, 8
	s_add_i32 s9, s10, 8
	v_add_u32_e32 v5, s10, v1
	s_mov_b32 s11, 0
	s_waitcnt lgkmcnt(0)
	s_barrier
	s_branch .LBB7_19
.LBB7_18:                               ;   in Loop: Header=BB7_19 Depth=1
	s_add_i32 s8, s8, s9
	s_cmp_eq_u32 s11, s18
	v_add_u32_e32 v5, s10, v5
	s_barrier
	s_cbranch_scc1 .LBB7_28
.LBB7_19:                               ; =>This Loop Header: Depth=1
                                        ;     Child Loop BB7_24 Depth 2
	v_cmp_lt_u32_e32 vcc, s11, v0
	s_mul_i32 s17, s11, s18
	v_mov_b64_e32 v[2:3], 0
	s_and_saveexec_b64 s[4:5], vcc
	s_cbranch_execz .LBB7_21
; %bb.20:                               ;   in Loop: Header=BB7_19 Depth=1
	s_lshl_b32 s19, s11, 3
	s_lshl_b32 s20, s17, 3
	s_add_i32 s19, s19, s20
	v_add_u32_e32 v2, s20, v1
	v_mov_b32_e32 v6, s19
	ds_read_b64 v[2:3], v2
	ds_read_b64 v[6:7], v6
	s_waitcnt lgkmcnt(0)
	v_fma_f64 v[2:3], v[2:3], v[6:7], 0
.LBB7_21:                               ;   in Loop: Header=BB7_19 Depth=1
	s_or_b64 exec, exec, s[4:5]
	s_add_i32 s11, s11, 1
	s_cmp_ge_i32 s11, s18
	s_barrier
	s_cbranch_scc1 .LBB7_18
; %bb.22:                               ;   in Loop: Header=BB7_19 Depth=1
	v_lshl_add_u32 v6, s17, 3, v1
	v_mov_b32_e32 v7, v5
	s_mov_b32 s17, s8
	s_mov_b32 s19, s11
	s_branch .LBB7_24
.LBB7_23:                               ;   in Loop: Header=BB7_24 Depth=2
	s_or_b64 exec, exec, s[4:5]
	s_add_i32 s19, s19, 1
	s_add_i32 s17, s17, 8
	s_cmp_eq_u32 s18, s19
	v_add_u32_e32 v7, s10, v7
	s_barrier
	s_cbranch_scc1 .LBB7_18
.LBB7_24:                               ;   Parent Loop BB7_19 Depth=1
                                        ; =>  This Inner Loop Header: Depth=2
	v_cmp_eq_u32_e32 vcc, s19, v0
	s_and_saveexec_b64 s[4:5], vcc
	s_cbranch_execz .LBB7_26
; %bb.25:                               ;   in Loop: Header=BB7_24 Depth=2
	ds_read_b64 v[8:9], v4
	v_add_f64 v[10:11], -v[2:3], 0
	s_waitcnt lgkmcnt(0)
	v_mul_f64 v[8:9], v[10:11], v[8:9]
	ds_write_b64 v6, v[8:9]
.LBB7_26:                               ;   in Loop: Header=BB7_24 Depth=2
	s_or_b64 exec, exec, s[4:5]
	v_cmp_lt_u32_e32 vcc, s19, v0
	s_waitcnt lgkmcnt(0)
	s_barrier
	s_and_saveexec_b64 s[4:5], vcc
	s_cbranch_execz .LBB7_23
; %bb.27:                               ;   in Loop: Header=BB7_24 Depth=2
	v_mov_b32_e32 v10, s17
	ds_read_b64 v[8:9], v7
	ds_read_b64 v[10:11], v10
	s_waitcnt lgkmcnt(0)
	v_fmac_f64_e32 v[2:3], v[8:9], v[10:11]
	s_branch .LBB7_23
.LBB7_28:
	s_and_saveexec_b64 s[4:5], s[6:7]
	s_cbranch_execz .LBB7_36
; %bb.29:
	s_load_dwordx4 s[20:23], s[0:1], 0x50
	s_load_dword s4, s[0:1], 0x48
	s_mov_b64 s[6:7], -1
	s_waitcnt lgkmcnt(0)
	s_mul_i32 s1, s21, s3
	s_mul_hi_u32 s5, s20, s3
	s_mul_i32 s0, s20, s3
	s_mul_i32 s3, s23, s2
	s_add_i32 s1, s5, s1
	s_mul_hi_u32 s5, s22, s2
	s_add_i32 s3, s5, s3
	s_mul_i32 s2, s22, s2
	s_cmpk_lg_i32 s16, 0x7a
	s_cbranch_scc0 .LBB7_33
; %bb.30:
	s_add_i32 s11, s18, -1
	s_ashr_i32 s5, s4, 31
	s_lshl_b64 s[6:7], s[2:3], 3
	s_lshl_b64 s[8:9], s[0:1], 3
	s_add_u32 s8, s6, s8
	s_addc_u32 s9, s7, s9
	s_mul_i32 s6, s5, s11
	s_mul_hi_u32 s7, s4, s11
	s_add_i32 s7, s7, s6
	s_mul_i32 s6, s4, s11
	s_lshl_b64 s[6:7], s[6:7], 3
	s_add_u32 s8, s8, s6
	s_addc_u32 s9, s9, s7
	s_lshl_b64 s[6:7], s[14:15], 3
	s_add_u32 s6, s8, s6
	s_addc_u32 s7, s9, s7
	s_add_u32 s6, s12, s6
	v_sub_u32_e32 v2, s11, v0
	s_addc_u32 s7, s13, s7
	s_lshl_b64 s[8:9], s[4:5], 3
	v_lshlrev_b32_e32 v4, 3, v2
	v_lshlrev_b32_e32 v2, 3, v0
	v_mov_b32_e32 v3, 0
	s_sub_u32 s8, 0, s8
	v_lshl_add_u64 v[2:3], s[6:7], 0, v[2:3]
	s_mov_b64 s[6:7], 0
	s_subb_u32 s9, 0, s9
.LBB7_31:                               ; =>This Inner Loop Header: Depth=1
	ds_read_b64 v[6:7], v4
	s_add_i32 s18, s18, -1
	v_cmp_le_u32_e32 vcc, s18, v0
	v_add_u32_e32 v4, s10, v4
	s_or_b64 s[6:7], vcc, s[6:7]
	s_waitcnt lgkmcnt(0)
	global_store_dwordx2 v[2:3], v[6:7], off
	v_lshl_add_u64 v[2:3], v[2:3], 0, s[8:9]
	s_andn2_b64 exec, exec, s[6:7]
	s_cbranch_execnz .LBB7_31
; %bb.32:
	s_or_b64 exec, exec, s[6:7]
	s_mov_b64 s[6:7], 0
.LBB7_33:
	s_and_b64 vcc, exec, s[6:7]
	s_cbranch_vccz .LBB7_36
; %bb.34:
	s_lshl_b64 s[0:1], s[0:1], 3
	s_add_u32 s5, s12, s0
	s_addc_u32 s6, s13, s1
	s_lshl_b64 s[0:1], s[14:15], 3
	s_add_u32 s5, s5, s0
	s_addc_u32 s6, s6, s1
	;; [unrolled: 3-line block ×3, first 2 shown]
	s_ashr_i32 s5, s4, 31
	v_lshlrev_b32_e32 v2, 3, v0
	v_mov_b32_e32 v3, 0
	v_lshl_add_u64 v[2:3], s[0:1], 0, v[2:3]
	v_add_u32_e32 v0, 1, v0
	s_lshl_b64 s[0:1], s[4:5], 3
	s_mov_b64 s[2:3], 0
.LBB7_35:                               ; =>This Inner Loop Header: Depth=1
	ds_read_b64 v[4:5], v1
	v_add_u32_e32 v0, -1, v0
	v_cmp_eq_u32_e32 vcc, 0, v0
	v_add_u32_e32 v1, s10, v1
	s_or_b64 s[2:3], vcc, s[2:3]
	s_waitcnt lgkmcnt(0)
	global_store_dwordx2 v[2:3], v[4:5], off
	v_lshl_add_u64 v[2:3], v[2:3], 0, s[0:1]
	s_andn2_b64 exec, exec, s[2:3]
	s_cbranch_execnz .LBB7_35
.LBB7_36:
	s_endpgm
	.section	.rodata,"a",@progbits
	.p2align	6, 0x0
	.amdhsa_kernel _ZL30rocblas_trtri_remainder_kernelILi16EdPKdPdEv13rocblas_fill_17rocblas_diagonal_iT1_lillT2_lilli
		.amdhsa_group_segment_fixed_size 8192
		.amdhsa_private_segment_fixed_size 0
		.amdhsa_kernarg_size 100
		.amdhsa_user_sgpr_count 2
		.amdhsa_user_sgpr_dispatch_ptr 0
		.amdhsa_user_sgpr_queue_ptr 0
		.amdhsa_user_sgpr_kernarg_segment_ptr 1
		.amdhsa_user_sgpr_dispatch_id 0
		.amdhsa_user_sgpr_kernarg_preload_length 0
		.amdhsa_user_sgpr_kernarg_preload_offset 0
		.amdhsa_user_sgpr_private_segment_size 0
		.amdhsa_uses_dynamic_stack 0
		.amdhsa_enable_private_segment 0
		.amdhsa_system_sgpr_workgroup_id_x 1
		.amdhsa_system_sgpr_workgroup_id_y 0
		.amdhsa_system_sgpr_workgroup_id_z 1
		.amdhsa_system_sgpr_workgroup_info 0
		.amdhsa_system_vgpr_workitem_id 0
		.amdhsa_next_free_vgpr 14
		.amdhsa_next_free_sgpr 34
		.amdhsa_accum_offset 16
		.amdhsa_reserve_vcc 1
		.amdhsa_float_round_mode_32 0
		.amdhsa_float_round_mode_16_64 0
		.amdhsa_float_denorm_mode_32 3
		.amdhsa_float_denorm_mode_16_64 3
		.amdhsa_dx10_clamp 1
		.amdhsa_ieee_mode 1
		.amdhsa_fp16_overflow 0
		.amdhsa_tg_split 0
		.amdhsa_exception_fp_ieee_invalid_op 0
		.amdhsa_exception_fp_denorm_src 0
		.amdhsa_exception_fp_ieee_div_zero 0
		.amdhsa_exception_fp_ieee_overflow 0
		.amdhsa_exception_fp_ieee_underflow 0
		.amdhsa_exception_fp_ieee_inexact 0
		.amdhsa_exception_int_div_zero 0
	.end_amdhsa_kernel
	.section	.text._ZL30rocblas_trtri_remainder_kernelILi16EdPKdPdEv13rocblas_fill_17rocblas_diagonal_iT1_lillT2_lilli,"axG",@progbits,_ZL30rocblas_trtri_remainder_kernelILi16EdPKdPdEv13rocblas_fill_17rocblas_diagonal_iT1_lillT2_lilli,comdat
.Lfunc_end7:
	.size	_ZL30rocblas_trtri_remainder_kernelILi16EdPKdPdEv13rocblas_fill_17rocblas_diagonal_iT1_lillT2_lilli, .Lfunc_end7-_ZL30rocblas_trtri_remainder_kernelILi16EdPKdPdEv13rocblas_fill_17rocblas_diagonal_iT1_lillT2_lilli
                                        ; -- End function
	.set _ZL30rocblas_trtri_remainder_kernelILi16EdPKdPdEv13rocblas_fill_17rocblas_diagonal_iT1_lillT2_lilli.num_vgpr, 14
	.set _ZL30rocblas_trtri_remainder_kernelILi16EdPKdPdEv13rocblas_fill_17rocblas_diagonal_iT1_lillT2_lilli.num_agpr, 0
	.set _ZL30rocblas_trtri_remainder_kernelILi16EdPKdPdEv13rocblas_fill_17rocblas_diagonal_iT1_lillT2_lilli.numbered_sgpr, 34
	.set _ZL30rocblas_trtri_remainder_kernelILi16EdPKdPdEv13rocblas_fill_17rocblas_diagonal_iT1_lillT2_lilli.num_named_barrier, 0
	.set _ZL30rocblas_trtri_remainder_kernelILi16EdPKdPdEv13rocblas_fill_17rocblas_diagonal_iT1_lillT2_lilli.private_seg_size, 0
	.set _ZL30rocblas_trtri_remainder_kernelILi16EdPKdPdEv13rocblas_fill_17rocblas_diagonal_iT1_lillT2_lilli.uses_vcc, 1
	.set _ZL30rocblas_trtri_remainder_kernelILi16EdPKdPdEv13rocblas_fill_17rocblas_diagonal_iT1_lillT2_lilli.uses_flat_scratch, 0
	.set _ZL30rocblas_trtri_remainder_kernelILi16EdPKdPdEv13rocblas_fill_17rocblas_diagonal_iT1_lillT2_lilli.has_dyn_sized_stack, 0
	.set _ZL30rocblas_trtri_remainder_kernelILi16EdPKdPdEv13rocblas_fill_17rocblas_diagonal_iT1_lillT2_lilli.has_recursion, 0
	.set _ZL30rocblas_trtri_remainder_kernelILi16EdPKdPdEv13rocblas_fill_17rocblas_diagonal_iT1_lillT2_lilli.has_indirect_call, 0
	.section	.AMDGPU.csdata,"",@progbits
; Kernel info:
; codeLenInByte = 1288
; TotalNumSgprs: 40
; NumVgprs: 14
; NumAgprs: 0
; TotalNumVgprs: 14
; ScratchSize: 0
; MemoryBound: 0
; FloatMode: 240
; IeeeMode: 1
; LDSByteSize: 8192 bytes/workgroup (compile time only)
; SGPRBlocks: 4
; VGPRBlocks: 1
; NumSGPRsForWavesPerEU: 40
; NumVGPRsForWavesPerEU: 14
; AccumOffset: 16
; Occupancy: 8
; WaveLimiterHint : 0
; COMPUTE_PGM_RSRC2:SCRATCH_EN: 0
; COMPUTE_PGM_RSRC2:USER_SGPR: 2
; COMPUTE_PGM_RSRC2:TRAP_HANDLER: 0
; COMPUTE_PGM_RSRC2:TGID_X_EN: 1
; COMPUTE_PGM_RSRC2:TGID_Y_EN: 0
; COMPUTE_PGM_RSRC2:TGID_Z_EN: 1
; COMPUTE_PGM_RSRC2:TIDIG_COMP_CNT: 0
; COMPUTE_PGM_RSRC3_GFX90A:ACCUM_OFFSET: 3
; COMPUTE_PGM_RSRC3_GFX90A:TG_SPLIT: 0
	.section	.text._ZL18rocblas_trtri_fillILi128E19rocblas_complex_numIfEPS1_EvP15_rocblas_handle13rocblas_fill_ililT1_llii,"axG",@progbits,_ZL18rocblas_trtri_fillILi128E19rocblas_complex_numIfEPS1_EvP15_rocblas_handle13rocblas_fill_ililT1_llii,comdat
	.globl	_ZL18rocblas_trtri_fillILi128E19rocblas_complex_numIfEPS1_EvP15_rocblas_handle13rocblas_fill_ililT1_llii ; -- Begin function _ZL18rocblas_trtri_fillILi128E19rocblas_complex_numIfEPS1_EvP15_rocblas_handle13rocblas_fill_ililT1_llii
	.p2align	8
	.type	_ZL18rocblas_trtri_fillILi128E19rocblas_complex_numIfEPS1_EvP15_rocblas_handle13rocblas_fill_ililT1_llii,@function
_ZL18rocblas_trtri_fillILi128E19rocblas_complex_numIfEPS1_EvP15_rocblas_handle13rocblas_fill_ililT1_llii: ; @_ZL18rocblas_trtri_fillILi128E19rocblas_complex_numIfEPS1_EvP15_rocblas_handle13rocblas_fill_ililT1_llii
; %bb.0:
	s_mov_b32 s4, s2
	s_load_dword s2, s[0:1], 0x40
	s_load_dwordx2 s[12:13], s[0:1], 0x10
	s_waitcnt lgkmcnt(0)
	s_ashr_i32 s5, s2, 31
	s_mul_hi_u32 s6, s12, s2
	s_mul_i32 s5, s12, s5
	s_add_i32 s5, s6, s5
	s_mul_i32 s6, s13, s2
	s_add_i32 s15, s5, s6
	s_mov_b32 s5, 0
	s_lshl_b64 s[4:5], s[4:5], 7
	s_mul_i32 s14, s12, s2
	v_or_b32_e32 v0, s4, v0
	v_mov_b32_e32 v1, s5
	v_cmp_gt_u64_e32 vcc, s[14:15], v[0:1]
	s_and_saveexec_b64 s[4:5], vcc
	s_cbranch_execz .LBB8_16
; %bb.1:
	v_cvt_f32_u32_e32 v5, s12
	v_cvt_f32_u32_e32 v6, s13
	s_load_dword s16, s[0:1], 0x18
	s_load_dwordx8 s[4:11], s[0:1], 0x20
	s_load_dwordx2 s[18:19], s[0:1], 0x8
	s_mov_b32 s20, 0
	v_mov_b32_e32 v4, 0
	v_fmac_f32_e32 v5, 0x4f800000, v6
	s_waitcnt lgkmcnt(0)
	s_mul_i32 s2, s11, s3
	s_mul_hi_u32 s11, s10, s3
	v_rcp_f32_e32 v5, v5
	v_cvt_f32_u32_e32 v6, s12
	s_add_i32 s11, s11, s2
	s_mul_i32 s10, s10, s3
	s_ashr_i32 s17, s16, 31
	s_lshl_b64 s[2:3], s[10:11], 3
	s_add_u32 s6, s6, s2
	s_addc_u32 s7, s7, s3
	s_lshl_b64 s[2:3], s[8:9], 3
	v_mul_f32_e32 v5, 0x5f7ffffc, v5
	v_rcp_iflag_f32_e32 v6, v6
	s_add_u32 s2, s6, s2
	v_mul_f32_e32 v7, 0x2f800000, v5
	s_addc_u32 s3, s7, s3
	s_add_i32 s6, s19, -2
	s_load_dword s8, s[0:1], 0x48
	s_load_dword s9, s[0:1], 0x54
	v_trunc_f32_e32 v7, v7
	v_cvt_f64_i32_e32 v[2:3], s6
	s_add_i32 s6, s19, -1
	v_fmac_f32_e32 v5, 0xcf800000, v7
	s_mul_hi_i32 s7, s6, s19
	s_mul_i32 s6, s6, s19
	v_cvt_u32_f32_e32 v13, v5
	v_mul_f32_e32 v5, 0x4f7ffffe, v6
	s_ashr_i32 s24, s19, 31
	s_lshl_b64 s[0:1], s[6:7], 2
	v_cvt_u32_f32_e32 v14, v7
	v_cvt_u32_f32_e32 v15, v5
	s_mov_b32 s25, s19
	s_add_u32 s19, s0, -7
	s_addc_u32 s26, s1, -1
	s_waitcnt lgkmcnt(0)
	s_and_b32 s0, s9, 0xffff
	s_lshr_b64 s[6:7], s[6:7], 1
	s_mul_hi_u32 s9, s0, s8
	s_mul_i32 s8, s0, s8
	s_mov_b64 s[10:11], 0
	s_brev_b32 s21, 8
	v_mov_b32_e32 v12, 0x260
	s_movk_i32 s27, 0xffe0
	v_mov_b32_e32 v16, 0x100
	v_mov_b32_e32 v17, 0xffffff80
	s_branch .LBB8_3
.LBB8_2:                                ;   in Loop: Header=BB8_3 Depth=1
	v_lshl_add_u64 v[0:1], v[0:1], 0, s[8:9]
	v_cmp_le_u64_e32 vcc, s[14:15], v[0:1]
	s_or_b64 s[10:11], vcc, s[10:11]
	s_andn2_b64 exec, exec, s[10:11]
	s_cbranch_execz .LBB8_16
.LBB8_3:                                ; =>This Inner Loop Header: Depth=1
	v_or_b32_e32 v5, s13, v1
	v_cmp_ne_u64_e32 vcc, 0, v[4:5]
                                        ; implicit-def: $vgpr6_vgpr7
	s_and_saveexec_b64 s[0:1], vcc
	s_xor_b64 s[22:23], exec, s[0:1]
	s_cbranch_execz .LBB8_5
; %bb.4:                                ;   in Loop: Header=BB8_3 Depth=1
	s_sub_u32 s28, 0, s12
	v_readfirstlane_b32 s0, v13
	v_readfirstlane_b32 s31, v14
	s_subb_u32 s29, 0, s13
	s_mul_hi_u32 s30, s28, s0
	s_mul_i32 s33, s28, s31
	s_mul_i32 s1, s29, s0
	s_add_i32 s30, s30, s33
	s_add_i32 s30, s30, s1
	s_mul_i32 s34, s28, s0
	s_mul_i32 s33, s0, s30
	s_mul_hi_u32 s35, s0, s34
	s_mul_hi_u32 s1, s0, s30
	s_add_u32 s33, s35, s33
	s_addc_u32 s1, 0, s1
	s_mul_hi_u32 s36, s31, s34
	s_mul_i32 s34, s31, s34
	s_add_u32 s33, s33, s34
	s_mul_hi_u32 s35, s31, s30
	s_addc_u32 s1, s1, s36
	s_addc_u32 s33, s35, 0
	s_mul_i32 s30, s31, s30
	s_add_u32 s1, s1, s30
	s_addc_u32 s30, 0, s33
	s_add_u32 s33, s0, s1
	s_cselect_b64 s[0:1], -1, 0
	s_cmp_lg_u64 s[0:1], 0
	s_addc_u32 s30, s31, s30
	s_mul_i32 s0, s28, s30
	s_mul_hi_u32 s1, s28, s33
	s_add_i32 s0, s1, s0
	s_mul_i32 s29, s29, s33
	s_add_i32 s0, s0, s29
	s_mul_i32 s28, s28, s33
	s_mul_hi_u32 s29, s30, s28
	s_mul_i32 s31, s30, s28
	s_mul_i32 s35, s33, s0
	s_mul_hi_u32 s28, s33, s28
	s_mul_hi_u32 s34, s33, s0
	s_add_u32 s28, s28, s35
	s_addc_u32 s34, 0, s34
	s_add_u32 s28, s28, s31
	s_mul_hi_u32 s1, s30, s0
	s_addc_u32 s28, s34, s29
	s_addc_u32 s1, s1, 0
	s_mul_i32 s0, s30, s0
	s_add_u32 s0, s28, s0
	s_addc_u32 s28, 0, s1
	s_add_u32 s29, s33, s0
	s_cselect_b64 s[0:1], -1, 0
	s_cmp_lg_u64 s[0:1], 0
	s_addc_u32 s28, s30, s28
	v_mad_u64_u32 v[6:7], s[0:1], v0, s28, 0
	v_mul_hi_u32 v8, v0, s29
	v_mov_b32_e32 v9, v4
	v_lshl_add_u64 v[6:7], v[8:9], 0, v[6:7]
	v_mad_u64_u32 v[10:11], s[0:1], v1, s29, 0
	v_add_co_u32_e32 v5, vcc, v6, v10
	v_mad_u64_u32 v[8:9], s[0:1], v1, s28, 0
	s_nop 0
	v_addc_co_u32_e32 v6, vcc, v7, v11, vcc
	v_mov_b32_e32 v7, v4
	s_nop 0
	v_addc_co_u32_e32 v9, vcc, 0, v9, vcc
	v_lshl_add_u64 v[6:7], v[6:7], 0, v[8:9]
	v_mul_lo_u32 v5, s13, v6
	v_mul_lo_u32 v10, s12, v7
	v_mad_u64_u32 v[8:9], s[0:1], s12, v6, 0
	v_add3_u32 v5, v9, v10, v5
	v_sub_u32_e32 v9, v1, v5
	v_mov_b32_e32 v10, s13
	v_sub_co_u32_e32 v18, vcc, v0, v8
	s_nop 1
	v_subb_co_u32_e64 v8, s[0:1], v9, v10, vcc
	v_subrev_co_u32_e64 v9, s[0:1], s12, v18
	v_subb_co_u32_e32 v5, vcc, v1, v5, vcc
	s_nop 0
	v_subbrev_co_u32_e64 v8, s[0:1], 0, v8, s[0:1]
	v_cmp_le_u32_e64 s[0:1], s13, v8
	v_cmp_le_u32_e32 vcc, s13, v5
	s_nop 0
	v_cndmask_b32_e64 v10, 0, -1, s[0:1]
	v_cmp_le_u32_e64 s[0:1], s12, v9
	s_nop 1
	v_cndmask_b32_e64 v9, 0, -1, s[0:1]
	v_cmp_eq_u32_e64 s[0:1], s13, v8
	s_nop 1
	v_cndmask_b32_e64 v19, v10, v9, s[0:1]
	v_lshl_add_u64 v[8:9], v[6:7], 0, 2
	v_lshl_add_u64 v[10:11], v[6:7], 0, 1
	v_cmp_ne_u32_e64 s[0:1], 0, v19
	s_nop 1
	v_cndmask_b32_e64 v9, v11, v9, s[0:1]
	v_cndmask_b32_e64 v11, 0, -1, vcc
	v_cmp_le_u32_e32 vcc, s12, v18
	s_nop 1
	v_cndmask_b32_e64 v18, 0, -1, vcc
	v_cmp_eq_u32_e32 vcc, s13, v5
	s_nop 1
	v_cndmask_b32_e32 v5, v11, v18, vcc
	v_cmp_ne_u32_e32 vcc, 0, v5
	v_cndmask_b32_e64 v5, v10, v8, s[0:1]
	s_nop 0
	v_cndmask_b32_e32 v7, v7, v9, vcc
	v_cndmask_b32_e32 v6, v6, v5, vcc
.LBB8_5:                                ;   in Loop: Header=BB8_3 Depth=1
	s_andn2_saveexec_b64 s[0:1], s[22:23]
	s_cbranch_execz .LBB8_7
; %bb.6:                                ;   in Loop: Header=BB8_3 Depth=1
	s_sub_i32 s22, 0, s12
	v_mul_lo_u32 v5, s22, v15
	v_mul_hi_u32 v5, v15, v5
	v_add_u32_e32 v5, v15, v5
	v_mul_hi_u32 v5, v0, v5
	v_mul_lo_u32 v6, v5, s12
	v_sub_u32_e32 v6, v0, v6
	v_subrev_u32_e32 v7, s12, v6
	v_cmp_le_u32_e32 vcc, s12, v6
	s_nop 1
	v_cndmask_b32_e32 v6, v6, v7, vcc
	v_add_u32_e32 v7, 1, v5
	v_cndmask_b32_e32 v5, v5, v7, vcc
	v_add_u32_e32 v7, 1, v5
	v_cmp_le_u32_e32 vcc, s12, v6
	s_nop 1
	v_cndmask_b32_e32 v6, v5, v7, vcc
	v_mov_b32_e32 v7, v4
.LBB8_7:                                ;   in Loop: Header=BB8_3 Depth=1
	s_or_b64 exec, exec, s[0:1]
	v_mul_lo_u32 v5, v7, s12
	v_mul_lo_u32 v10, v6, s13
	v_mad_u64_u32 v[8:9], s[0:1], v6, s12, 0
	v_add3_u32 v5, v9, v10, v5
	v_sub_co_u32_e32 v8, vcc, v0, v8
	s_cmpk_lt_i32 s18, 0x7a
	s_nop 0
	v_subb_co_u32_e32 v9, vcc, v1, v5, vcc
	s_cbranch_scc1 .LBB8_10
; %bb.8:                                ;   in Loop: Header=BB8_3 Depth=1
	s_mov_b64 s[0:1], 0
	s_cmpk_eq_i32 s18, 0x7a
	s_mov_b64 s[22:23], 0
                                        ; implicit-def: $vgpr10_vgpr11
	s_cbranch_scc0 .LBB8_11
; %bb.9:                                ;   in Loop: Header=BB8_3 Depth=1
	v_lshlrev_b64 v[10:11], 3, v[8:9]
	v_mov_b32_e32 v5, s26
	v_sub_co_u32_e32 v18, vcc, s19, v10
	v_cvt_f64_u32_e32 v[18:19], v18
	s_nop 0
	v_subb_co_u32_e32 v5, vcc, v5, v11, vcc
	v_cvt_f64_u32_e32 v[10:11], v5
	v_ldexp_f64 v[10:11], v[10:11], 32
	v_add_f64 v[10:11], v[10:11], v[18:19]
	v_cmp_gt_f64_e32 vcc, s[20:21], v[10:11]
	s_nop 1
	v_cndmask_b32_e32 v5, 0, v16, vcc
	v_ldexp_f64 v[10:11], v[10:11], v5
	v_rsq_f64_e32 v[18:19], v[10:11]
	v_cndmask_b32_e32 v5, 0, v17, vcc
	v_cmp_class_f64_e32 vcc, v[10:11], v12
	v_mul_f64 v[20:21], v[10:11], v[18:19]
	v_mul_f64 v[18:19], v[18:19], 0.5
	v_fma_f64 v[22:23], -v[18:19], v[20:21], 0.5
	v_fmac_f64_e32 v[20:21], v[20:21], v[22:23]
	v_fma_f64 v[24:25], -v[20:21], v[20:21], v[10:11]
	v_fmac_f64_e32 v[18:19], v[18:19], v[22:23]
	v_fmac_f64_e32 v[20:21], v[24:25], v[18:19]
	v_fma_f64 v[22:23], -v[20:21], v[20:21], v[10:11]
	v_fmac_f64_e32 v[20:21], v[22:23], v[18:19]
	v_ldexp_f64 v[18:19], v[20:21], v5
	v_cndmask_b32_e32 v11, v19, v11, vcc
	v_cndmask_b32_e32 v10, v18, v10, vcc
	v_fma_f64 v[10:11], v[10:11], 0.5, -0.5
	v_floor_f64_e32 v[10:11], v[10:11]
	v_add_f64 v[10:11], v[2:3], -v[10:11]
	v_trunc_f64_e32 v[10:11], v[10:11]
	v_ldexp_f64 v[18:19], v[10:11], s27
	v_floor_f64_e32 v[18:19], v[18:19]
	v_fmac_f64_e32 v[10:11], 0xc1f00000, v[18:19]
	v_cvt_u32_f64_e32 v10, v[10:11]
	v_cvt_u32_f64_e32 v11, v[18:19]
	v_mov_b32_e32 v5, s7
	v_subrev_co_u32_e32 v18, vcc, s6, v8
	v_mul_lo_u32 v24, v6, s5
	s_nop 0
	v_subb_co_u32_e32 v19, vcc, v9, v5, vcc
	v_mov_b32_e32 v5, s24
	v_sub_co_u32_e32 v20, vcc, s25, v10
	v_mul_lo_u32 v26, v11, s16
	s_nop 0
	v_subb_co_u32_e32 v21, vcc, v5, v11, vcc
	v_lshl_add_u64 v[22:23], v[20:21], 0, -1
	v_mul_lo_u32 v5, v23, v20
	v_mul_lo_u32 v23, v22, v21
	v_mad_u64_u32 v[20:21], s[22:23], v22, v20, 0
	v_add3_u32 v21, v21, v23, v5
	v_mul_lo_u32 v5, v7, s4
	v_mad_u64_u32 v[22:23], s[22:23], v6, s4, 0
	v_add3_u32 v23, v23, v24, v5
	;; [unrolled: 3-line block ×3, first 2 shown]
	v_lshl_add_u64 v[22:23], v[22:23], 3, s[2:3]
	v_lshl_add_u64 v[22:23], v[24:25], 3, v[22:23]
	;; [unrolled: 1-line block ×4, first 2 shown]
	v_lshlrev_b64 v[18:19], 2, v[20:21]
	v_and_b32_e32 v18, -8, v18
	v_lshl_add_u64 v[18:19], v[10:11], 0, v[18:19]
	v_lshl_add_u64 v[10:11], v[18:19], 0, 8
	global_store_dword v[18:19], v4, off offset:8
	s_mov_b64 s[22:23], -1
	s_branch .LBB8_11
.LBB8_10:                               ;   in Loop: Header=BB8_3 Depth=1
	s_mov_b64 s[0:1], -1
	s_mov_b64 s[22:23], 0
                                        ; implicit-def: $vgpr10_vgpr11
.LBB8_11:                               ;   in Loop: Header=BB8_3 Depth=1
	s_and_b64 vcc, exec, s[0:1]
	s_cbranch_vccz .LBB8_14
; %bb.12:                               ;   in Loop: Header=BB8_3 Depth=1
	s_cmpk_eq_i32 s18, 0x79
                                        ; implicit-def: $vgpr10_vgpr11
	s_cbranch_scc0 .LBB8_14
; %bb.13:                               ;   in Loop: Header=BB8_3 Depth=1
	v_lshlrev_b64 v[10:11], 3, v[8:9]
	v_or_b32_e32 v5, 1, v10
	v_cvt_f64_u32_e32 v[10:11], v11
	v_ldexp_f64 v[10:11], v[10:11], 32
	v_cvt_f64_u32_e32 v[18:19], v5
	v_add_f64 v[10:11], v[10:11], v[18:19]
	v_cmp_gt_f64_e32 vcc, s[20:21], v[10:11]
	s_mov_b64 s[22:23], -1
	s_nop 0
	v_cndmask_b32_e32 v5, 0, v16, vcc
	v_ldexp_f64 v[10:11], v[10:11], v5
	v_rsq_f64_e32 v[18:19], v[10:11]
	v_cndmask_b32_e32 v5, 0, v17, vcc
	v_cmp_class_f64_e32 vcc, v[10:11], v12
	v_mul_f64 v[20:21], v[10:11], v[18:19]
	v_mul_f64 v[18:19], v[18:19], 0.5
	v_fma_f64 v[22:23], -v[18:19], v[20:21], 0.5
	v_fmac_f64_e32 v[20:21], v[20:21], v[22:23]
	v_fma_f64 v[24:25], -v[20:21], v[20:21], v[10:11]
	v_fmac_f64_e32 v[18:19], v[18:19], v[22:23]
	v_fmac_f64_e32 v[20:21], v[24:25], v[18:19]
	v_fma_f64 v[22:23], -v[20:21], v[20:21], v[10:11]
	v_fmac_f64_e32 v[20:21], v[22:23], v[18:19]
	v_ldexp_f64 v[18:19], v[20:21], v5
	v_cndmask_b32_e32 v11, v19, v11, vcc
	v_cndmask_b32_e32 v10, v18, v10, vcc
	v_add_f64 v[10:11], v[10:11], -1.0
	v_mul_f64 v[10:11], v[10:11], 0.5
	v_trunc_f64_e32 v[10:11], v[10:11]
	v_ldexp_f64 v[18:19], v[10:11], s27
	v_floor_f64_e32 v[18:19], v[18:19]
	v_fmac_f64_e32 v[10:11], 0xc1f00000, v[18:19]
	v_cvt_u32_f64_e32 v10, v[10:11]
	v_cvt_u32_f64_e32 v11, v[18:19]
	v_mad_u64_u32 v[18:19], s[0:1], v10, v10, v[10:11]
	v_mul_lo_u32 v5, v10, v11
	v_add3_u32 v19, v5, v19, v5
	v_lshrrev_b64 v[18:19], 1, v[18:19]
	v_sub_co_u32_e32 v8, vcc, v8, v18
	v_mul_lo_u32 v5, v7, s4
	v_mul_lo_u32 v18, v6, s5
	v_mad_u64_u32 v[6:7], s[0:1], v6, s4, 0
	v_subb_co_u32_e32 v9, vcc, v9, v19, vcc
	v_add3_u32 v7, v7, v18, v5
	v_mov_b64_e32 v[18:19], s[16:17]
	v_mul_lo_u32 v5, s17, v10
	v_mad_u64_u32 v[18:19], s[0:1], s16, v10, v[18:19]
	v_mul_lo_u32 v10, s16, v11
	v_add3_u32 v19, v5, v19, v10
	v_lshl_add_u64 v[6:7], v[6:7], 3, s[2:3]
	v_lshl_add_u64 v[6:7], v[18:19], 3, v[6:7]
	;; [unrolled: 1-line block ×3, first 2 shown]
	global_store_dword v[10:11], v4, off
.LBB8_14:                               ;   in Loop: Header=BB8_3 Depth=1
	s_and_b64 vcc, exec, s[22:23]
	s_cbranch_vccz .LBB8_2
; %bb.15:                               ;   in Loop: Header=BB8_3 Depth=1
	global_store_dword v[10:11], v4, off offset:4
	s_branch .LBB8_2
.LBB8_16:
	s_endpgm
	.section	.rodata,"a",@progbits
	.p2align	6, 0x0
	.amdhsa_kernel _ZL18rocblas_trtri_fillILi128E19rocblas_complex_numIfEPS1_EvP15_rocblas_handle13rocblas_fill_ililT1_llii
		.amdhsa_group_segment_fixed_size 0
		.amdhsa_private_segment_fixed_size 0
		.amdhsa_kernarg_size 328
		.amdhsa_user_sgpr_count 2
		.amdhsa_user_sgpr_dispatch_ptr 0
		.amdhsa_user_sgpr_queue_ptr 0
		.amdhsa_user_sgpr_kernarg_segment_ptr 1
		.amdhsa_user_sgpr_dispatch_id 0
		.amdhsa_user_sgpr_kernarg_preload_length 0
		.amdhsa_user_sgpr_kernarg_preload_offset 0
		.amdhsa_user_sgpr_private_segment_size 0
		.amdhsa_uses_dynamic_stack 0
		.amdhsa_enable_private_segment 0
		.amdhsa_system_sgpr_workgroup_id_x 1
		.amdhsa_system_sgpr_workgroup_id_y 0
		.amdhsa_system_sgpr_workgroup_id_z 1
		.amdhsa_system_sgpr_workgroup_info 0
		.amdhsa_system_vgpr_workitem_id 0
		.amdhsa_next_free_vgpr 27
		.amdhsa_next_free_sgpr 37
		.amdhsa_accum_offset 28
		.amdhsa_reserve_vcc 1
		.amdhsa_float_round_mode_32 0
		.amdhsa_float_round_mode_16_64 0
		.amdhsa_float_denorm_mode_32 3
		.amdhsa_float_denorm_mode_16_64 3
		.amdhsa_dx10_clamp 1
		.amdhsa_ieee_mode 1
		.amdhsa_fp16_overflow 0
		.amdhsa_tg_split 0
		.amdhsa_exception_fp_ieee_invalid_op 0
		.amdhsa_exception_fp_denorm_src 0
		.amdhsa_exception_fp_ieee_div_zero 0
		.amdhsa_exception_fp_ieee_overflow 0
		.amdhsa_exception_fp_ieee_underflow 0
		.amdhsa_exception_fp_ieee_inexact 0
		.amdhsa_exception_int_div_zero 0
	.end_amdhsa_kernel
	.section	.text._ZL18rocblas_trtri_fillILi128E19rocblas_complex_numIfEPS1_EvP15_rocblas_handle13rocblas_fill_ililT1_llii,"axG",@progbits,_ZL18rocblas_trtri_fillILi128E19rocblas_complex_numIfEPS1_EvP15_rocblas_handle13rocblas_fill_ililT1_llii,comdat
.Lfunc_end8:
	.size	_ZL18rocblas_trtri_fillILi128E19rocblas_complex_numIfEPS1_EvP15_rocblas_handle13rocblas_fill_ililT1_llii, .Lfunc_end8-_ZL18rocblas_trtri_fillILi128E19rocblas_complex_numIfEPS1_EvP15_rocblas_handle13rocblas_fill_ililT1_llii
                                        ; -- End function
	.set _ZL18rocblas_trtri_fillILi128E19rocblas_complex_numIfEPS1_EvP15_rocblas_handle13rocblas_fill_ililT1_llii.num_vgpr, 27
	.set _ZL18rocblas_trtri_fillILi128E19rocblas_complex_numIfEPS1_EvP15_rocblas_handle13rocblas_fill_ililT1_llii.num_agpr, 0
	.set _ZL18rocblas_trtri_fillILi128E19rocblas_complex_numIfEPS1_EvP15_rocblas_handle13rocblas_fill_ililT1_llii.numbered_sgpr, 37
	.set _ZL18rocblas_trtri_fillILi128E19rocblas_complex_numIfEPS1_EvP15_rocblas_handle13rocblas_fill_ililT1_llii.num_named_barrier, 0
	.set _ZL18rocblas_trtri_fillILi128E19rocblas_complex_numIfEPS1_EvP15_rocblas_handle13rocblas_fill_ililT1_llii.private_seg_size, 0
	.set _ZL18rocblas_trtri_fillILi128E19rocblas_complex_numIfEPS1_EvP15_rocblas_handle13rocblas_fill_ililT1_llii.uses_vcc, 1
	.set _ZL18rocblas_trtri_fillILi128E19rocblas_complex_numIfEPS1_EvP15_rocblas_handle13rocblas_fill_ililT1_llii.uses_flat_scratch, 0
	.set _ZL18rocblas_trtri_fillILi128E19rocblas_complex_numIfEPS1_EvP15_rocblas_handle13rocblas_fill_ililT1_llii.has_dyn_sized_stack, 0
	.set _ZL18rocblas_trtri_fillILi128E19rocblas_complex_numIfEPS1_EvP15_rocblas_handle13rocblas_fill_ililT1_llii.has_recursion, 0
	.set _ZL18rocblas_trtri_fillILi128E19rocblas_complex_numIfEPS1_EvP15_rocblas_handle13rocblas_fill_ililT1_llii.has_indirect_call, 0
	.section	.AMDGPU.csdata,"",@progbits
; Kernel info:
; codeLenInByte = 1888
; TotalNumSgprs: 43
; NumVgprs: 27
; NumAgprs: 0
; TotalNumVgprs: 27
; ScratchSize: 0
; MemoryBound: 0
; FloatMode: 240
; IeeeMode: 1
; LDSByteSize: 0 bytes/workgroup (compile time only)
; SGPRBlocks: 5
; VGPRBlocks: 3
; NumSGPRsForWavesPerEU: 43
; NumVGPRsForWavesPerEU: 27
; AccumOffset: 28
; Occupancy: 8
; WaveLimiterHint : 0
; COMPUTE_PGM_RSRC2:SCRATCH_EN: 0
; COMPUTE_PGM_RSRC2:USER_SGPR: 2
; COMPUTE_PGM_RSRC2:TRAP_HANDLER: 0
; COMPUTE_PGM_RSRC2:TGID_X_EN: 1
; COMPUTE_PGM_RSRC2:TGID_Y_EN: 0
; COMPUTE_PGM_RSRC2:TGID_Z_EN: 1
; COMPUTE_PGM_RSRC2:TIDIG_COMP_CNT: 0
; COMPUTE_PGM_RSRC3_GFX90A:ACCUM_OFFSET: 6
; COMPUTE_PGM_RSRC3_GFX90A:TG_SPLIT: 0
	.section	.text._ZL26rocblas_trtri_small_kernelILi16E19rocblas_complex_numIfEPKS1_PS1_Ev13rocblas_fill_17rocblas_diagonal_iT1_lillT2_lilli,"axG",@progbits,_ZL26rocblas_trtri_small_kernelILi16E19rocblas_complex_numIfEPKS1_PS1_Ev13rocblas_fill_17rocblas_diagonal_iT1_lillT2_lilli,comdat
	.globl	_ZL26rocblas_trtri_small_kernelILi16E19rocblas_complex_numIfEPKS1_PS1_Ev13rocblas_fill_17rocblas_diagonal_iT1_lillT2_lilli ; -- Begin function _ZL26rocblas_trtri_small_kernelILi16E19rocblas_complex_numIfEPKS1_PS1_Ev13rocblas_fill_17rocblas_diagonal_iT1_lillT2_lilli
	.p2align	8
	.type	_ZL26rocblas_trtri_small_kernelILi16E19rocblas_complex_numIfEPKS1_PS1_Ev13rocblas_fill_17rocblas_diagonal_iT1_lillT2_lilli,@function
_ZL26rocblas_trtri_small_kernelILi16E19rocblas_complex_numIfEPKS1_PS1_Ev13rocblas_fill_17rocblas_diagonal_iT1_lillT2_lilli: ; @_ZL26rocblas_trtri_small_kernelILi16E19rocblas_complex_numIfEPKS1_PS1_Ev13rocblas_fill_17rocblas_diagonal_iT1_lillT2_lilli
; %bb.0:
	s_load_dwordx4 s[16:19], s[0:1], 0x0
	s_waitcnt lgkmcnt(0)
	s_cmp_lt_i32 s18, 1
	s_cbranch_scc1 .LBB9_43
; %bb.1:
	s_load_dwordx8 s[8:15], s[0:1], 0x28
	v_cmp_le_u32_e64 s[4:5], s18, v0
	v_cmp_gt_u32_e64 s[6:7], s18, v0
	s_and_saveexec_b64 s[24:25], s[6:7]
	s_cbranch_execz .LBB9_9
; %bb.2:
	s_load_dwordx4 s[20:23], s[0:1], 0x10
	s_load_dword s26, s[0:1], 0x20
	s_waitcnt lgkmcnt(0)
	s_mul_i32 s9, s9, s3
	s_mul_hi_u32 s19, s8, s3
	s_add_i32 s9, s19, s9
	s_mul_i32 s11, s11, s2
	s_mul_hi_u32 s19, s10, s2
	s_add_i32 s11, s19, s11
	s_mul_i32 s8, s8, s3
	s_mul_i32 s10, s10, s2
	s_cmpk_lg_i32 s16, 0x7a
	s_mov_b64 s[28:29], -1
	s_cbranch_scc0 .LBB9_6
; %bb.3:
	s_add_i32 s33, s18, -1
	s_ashr_i32 s27, s26, 31
	s_lshl_b32 s19, s18, 3
	s_lshl_b64 s[28:29], s[10:11], 3
	s_lshl_b64 s[30:31], s[8:9], 3
	s_add_u32 s30, s28, s30
	s_addc_u32 s31, s29, s31
	s_mul_i32 s28, s27, s33
	s_mul_hi_u32 s29, s26, s33
	s_add_i32 s29, s29, s28
	s_mul_i32 s28, s26, s33
	s_lshl_b64 s[28:29], s[28:29], 3
	s_add_u32 s30, s30, s28
	s_addc_u32 s31, s31, s29
	s_lshl_b64 s[28:29], s[22:23], 3
	s_add_u32 s28, s30, s28
	s_addc_u32 s29, s31, s29
	s_add_u32 s28, s20, s28
	s_addc_u32 s29, s21, s29
	s_lshl_b64 s[30:31], s[26:27], 3
	v_sub_u32_e32 v1, s33, v0
	v_lshlrev_b32_e32 v2, 3, v0
	v_mov_b32_e32 v3, 0
	s_sub_u32 s30, 0, s30
	v_lshlrev_b32_e32 v1, 3, v1
	v_lshl_add_u64 v[2:3], s[28:29], 0, v[2:3]
	s_mov_b64 s[28:29], 0
	s_subb_u32 s31, 0, s31
	s_mov_b32 s27, s18
.LBB9_4:                                ; =>This Inner Loop Header: Depth=1
	global_load_dwordx2 v[4:5], v[2:3], off
	s_add_i32 s27, s27, -1
	v_cmp_le_u32_e32 vcc, s27, v0
	v_lshl_add_u64 v[2:3], v[2:3], 0, s[30:31]
	s_or_b64 s[28:29], vcc, s[28:29]
	s_waitcnt vmcnt(0)
	ds_write_b64 v1, v[4:5]
	v_add_u32_e32 v1, s19, v1
	s_andn2_b64 exec, exec, s[28:29]
	s_cbranch_execnz .LBB9_4
; %bb.5:
	s_or_b64 exec, exec, s[28:29]
	s_mov_b64 s[28:29], 0
.LBB9_6:
	s_and_b64 vcc, exec, s[28:29]
	s_cbranch_vccz .LBB9_9
; %bb.7:
	s_lshl_b64 s[8:9], s[8:9], 3
	s_add_u32 s19, s20, s8
	s_addc_u32 s20, s21, s9
	s_lshl_b64 s[8:9], s[22:23], 3
	s_add_u32 s19, s19, s8
	s_addc_u32 s20, s20, s9
	;; [unrolled: 3-line block ×3, first 2 shown]
	s_ashr_i32 s27, s26, 31
	v_lshlrev_b32_e32 v2, 3, v0
	v_mov_b32_e32 v3, 0
	v_lshl_add_u64 v[4:5], s[8:9], 0, v[2:3]
	v_add_u32_e32 v1, 1, v0
	s_lshl_b32 s19, s18, 3
	s_lshl_b64 s[8:9], s[26:27], 3
	s_mov_b64 s[10:11], 0
.LBB9_8:                                ; =>This Inner Loop Header: Depth=1
	global_load_dwordx2 v[6:7], v[4:5], off
	v_add_u32_e32 v1, -1, v1
	v_cmp_eq_u32_e32 vcc, 0, v1
	v_lshl_add_u64 v[4:5], v[4:5], 0, s[8:9]
	s_or_b64 s[10:11], vcc, s[10:11]
	s_waitcnt vmcnt(0)
	ds_write_b64 v2, v[6:7]
	v_add_u32_e32 v2, s19, v2
	s_andn2_b64 exec, exec, s[10:11]
	s_cbranch_execnz .LBB9_8
.LBB9_9:
	s_or_b64 exec, exec, s[24:25]
	s_waitcnt lgkmcnt(0)
	; wave barrier
                                        ; implicit-def: $vgpr2
	s_and_saveexec_b64 s[8:9], s[4:5]
	s_xor_b64 s[4:5], exec, s[8:9]
; %bb.10:
	v_mad_u64_u32 v[2:3], s[8:9], v0, s18, v[0:1]
; %bb.11:
	s_andn2_saveexec_b64 s[8:9], s[4:5]
	s_cbranch_execz .LBB9_24
; %bb.12:
	v_mad_u64_u32 v[2:3], s[4:5], v0, s18, v[0:1]
	s_cmpk_lg_i32 s17, 0x84
	v_lshlrev_b32_e32 v1, 3, v2
	s_mov_b64 s[4:5], -1
	s_cbranch_scc0 .LBB9_22
; %bb.13:
	ds_read_b64 v[4:5], v1
	s_waitcnt lgkmcnt(0)
	v_cmp_neq_f32_e32 vcc, 0, v4
	v_cmp_neq_f32_e64 s[4:5], 0, v5
	s_or_b64 s[4:5], vcc, s[4:5]
	s_and_saveexec_b64 s[10:11], s[4:5]
	s_xor_b64 s[4:5], exec, s[10:11]
	s_cbranch_execz .LBB9_19
; %bb.14:
	v_cmp_ngt_f32_e64 s[10:11], |v4|, |v5|
                                        ; implicit-def: $vgpr6_vgpr7
	s_and_saveexec_b64 s[20:21], s[10:11]
	s_xor_b64 s[10:11], exec, s[20:21]
	s_cbranch_execz .LBB9_16
; %bb.15:
	v_div_scale_f32 v3, s[20:21], v5, v5, v4
	v_rcp_f32_e32 v6, v3
	v_div_scale_f32 v7, vcc, v4, v5, v4
	v_fma_f32 v8, -v3, v6, 1.0
	v_fmac_f32_e32 v6, v8, v6
	v_mul_f32_e32 v8, v7, v6
	v_fma_f32 v9, -v3, v8, v7
	v_fmac_f32_e32 v8, v9, v6
	v_fma_f32 v3, -v3, v8, v7
	v_div_fmas_f32 v3, v3, v6, v8
	v_div_fixup_f32 v3, v3, v5, v4
	v_fmac_f32_e32 v5, v4, v3
	v_div_scale_f32 v4, s[20:21], v5, v5, 1.0
	v_rcp_f32_e32 v6, v4
	s_nop 0
	v_fma_f32 v7, -v4, v6, 1.0
	v_fmac_f32_e32 v6, v7, v6
	v_div_scale_f32 v7, vcc, 1.0, v5, 1.0
	v_mul_f32_e32 v8, v7, v6
	v_fma_f32 v9, -v4, v8, v7
	v_fmac_f32_e32 v8, v9, v6
	v_fma_f32 v4, -v4, v8, v7
	v_div_fmas_f32 v4, v4, v6, v8
	v_div_fixup_f32 v4, v4, v5, 1.0
	v_mul_f32_e32 v6, v3, v4
	v_xor_b32_e32 v7, 0x80000000, v4
                                        ; implicit-def: $vgpr4_vgpr5
.LBB9_16:
	s_andn2_saveexec_b64 s[10:11], s[10:11]
	s_cbranch_execz .LBB9_18
; %bb.17:
	v_div_scale_f32 v3, s[20:21], v4, v4, v5
	v_rcp_f32_e32 v6, v3
	v_div_scale_f32 v7, vcc, v5, v4, v5
	v_fma_f32 v8, -v3, v6, 1.0
	v_fmac_f32_e32 v6, v8, v6
	v_mul_f32_e32 v8, v7, v6
	v_fma_f32 v9, -v3, v8, v7
	v_fmac_f32_e32 v8, v9, v6
	v_fma_f32 v3, -v3, v8, v7
	v_div_fmas_f32 v3, v3, v6, v8
	v_div_fixup_f32 v3, v3, v4, v5
	v_fmac_f32_e32 v4, v5, v3
	v_div_scale_f32 v5, s[20:21], v4, v4, 1.0
	v_rcp_f32_e32 v6, v5
	s_nop 0
	v_fma_f32 v7, -v5, v6, 1.0
	v_fmac_f32_e32 v6, v7, v6
	v_div_scale_f32 v7, vcc, 1.0, v4, 1.0
	v_mul_f32_e32 v8, v7, v6
	v_fma_f32 v9, -v5, v8, v7
	v_fmac_f32_e32 v8, v9, v6
	v_fma_f32 v5, -v5, v8, v7
	v_div_fmas_f32 v5, v5, v6, v8
	v_div_fixup_f32 v6, v5, v4, 1.0
	v_mul_f32_e64 v7, v3, -v6
.LBB9_18:
	s_or_b64 exec, exec, s[10:11]
	ds_write_b64 v1, v[6:7]
.LBB9_19:
	s_andn2_saveexec_b64 s[4:5], s[4:5]
; %bb.20:
	v_mov_b32_e32 v4, 1.0
	v_mov_b32_e32 v5, 0
	ds_write_b64 v1, v[4:5]
; %bb.21:
	s_or_b64 exec, exec, s[4:5]
	s_mov_b64 s[4:5], 0
.LBB9_22:
	s_andn2_b64 vcc, exec, s[4:5]
	s_cbranch_vccnz .LBB9_24
; %bb.23:
	v_mov_b32_e32 v4, 1.0
	v_mov_b32_e32 v5, 0
	ds_write_b64 v1, v[4:5]
.LBB9_24:
	s_or_b64 exec, exec, s[8:9]
	v_lshlrev_b32_e32 v1, 3, v0
	s_lshl_b32 s10, s18, 3
	v_lshlrev_b32_e32 v3, 3, v2
	v_add_u32_e32 v4, s10, v1
	s_mov_b32 s8, 8
	s_add_i32 s9, s10, 8
	s_mov_b32 s11, 0
	s_waitcnt lgkmcnt(0)
	; wave barrier
	s_branch .LBB9_26
.LBB9_25:                               ;   in Loop: Header=BB9_26 Depth=1
	s_add_i32 s8, s8, s9
	s_cmp_eq_u32 s11, s18
	v_add_u32_e32 v4, s10, v4
	; wave barrier
	s_cbranch_scc1 .LBB9_35
.LBB9_26:                               ; =>This Loop Header: Depth=1
                                        ;     Child Loop BB9_31 Depth 2
	v_cmp_lt_u32_e32 vcc, s11, v0
	v_mov_b32_e32 v5, 0
	s_mul_i32 s17, s11, s18
	v_mov_b32_e32 v2, 0
	s_and_saveexec_b64 s[4:5], vcc
	s_cbranch_execz .LBB9_28
; %bb.27:                               ;   in Loop: Header=BB9_26 Depth=1
	s_lshl_b32 s19, s17, 3
	s_lshl_b32 s20, s11, 3
	v_add_u32_e32 v2, s19, v1
	s_add_i32 s19, s20, s19
	v_mov_b32_e32 v5, s19
	ds_read_b64 v[6:7], v2
	ds_read_b64 v[8:9], v5
	s_waitcnt lgkmcnt(0)
	v_mul_f32_e32 v2, v9, v7
	v_mul_f32_e32 v7, v8, v7
	v_fma_f32 v2, v8, v6, -v2
	v_fmac_f32_e32 v7, v9, v6
	v_add_f32_e32 v5, 0, v2
	v_add_f32_e32 v2, 0, v7
.LBB9_28:                               ;   in Loop: Header=BB9_26 Depth=1
	s_or_b64 exec, exec, s[4:5]
	s_add_i32 s11, s11, 1
	s_cmp_ge_i32 s11, s18
	; wave barrier
	s_cbranch_scc1 .LBB9_25
; %bb.29:                               ;   in Loop: Header=BB9_26 Depth=1
	v_lshl_add_u32 v6, s17, 3, v1
	s_mov_b32 s17, s8
	v_mov_b32_e32 v7, v4
	s_mov_b32 s19, s11
	s_branch .LBB9_31
.LBB9_30:                               ;   in Loop: Header=BB9_31 Depth=2
	s_or_b64 exec, exec, s[4:5]
	s_add_i32 s19, s19, 1
	s_add_i32 s17, s17, 8
	s_cmp_eq_u32 s18, s19
	v_add_u32_e32 v7, s10, v7
	; wave barrier
	s_cbranch_scc1 .LBB9_25
.LBB9_31:                               ;   Parent Loop BB9_26 Depth=1
                                        ; =>  This Inner Loop Header: Depth=2
	v_cmp_eq_u32_e32 vcc, s19, v0
	s_and_saveexec_b64 s[4:5], vcc
	s_cbranch_execz .LBB9_33
; %bb.32:                               ;   in Loop: Header=BB9_31 Depth=2
	ds_read_b64 v[8:9], v3
	v_sub_f32_e32 v10, 0, v5
	s_waitcnt lgkmcnt(0)
	v_pk_mul_f32 v[12:13], v[2:3], v[8:9] op_sel:[0,1] op_sel_hi:[0,0]
	v_pk_fma_f32 v[14:15], v[10:11], v[8:9], v[12:13]
	v_pk_fma_f32 v[8:9], v[10:11], v[8:9], v[12:13] op_sel_hi:[0,1,1] neg_lo:[0,0,1] neg_hi:[0,0,1]
	v_mov_b32_e32 v15, v9
	ds_write_b64 v6, v[14:15]
.LBB9_33:                               ;   in Loop: Header=BB9_31 Depth=2
	s_or_b64 exec, exec, s[4:5]
	v_cmp_lt_u32_e32 vcc, s19, v0
	s_waitcnt lgkmcnt(0)
	; wave barrier
	s_and_saveexec_b64 s[4:5], vcc
	s_cbranch_execz .LBB9_30
; %bb.34:                               ;   in Loop: Header=BB9_31 Depth=2
	v_mov_b32_e32 v10, s17
	ds_read_b64 v[8:9], v7
	ds_read_b64 v[10:11], v10
	s_waitcnt lgkmcnt(0)
	v_mul_f32_e32 v12, v11, v9
	v_mul_f32_e32 v9, v10, v9
	v_fma_f32 v10, v10, v8, -v12
	v_fmac_f32_e32 v9, v11, v8
	v_add_f32_e32 v5, v5, v10
	v_add_f32_e32 v2, v2, v9
	s_branch .LBB9_30
.LBB9_35:
	s_and_saveexec_b64 s[4:5], s[6:7]
	s_cbranch_execz .LBB9_43
; %bb.36:
	s_load_dwordx4 s[20:23], s[0:1], 0x50
	s_load_dword s4, s[0:1], 0x48
	s_mov_b64 s[6:7], -1
	s_waitcnt lgkmcnt(0)
	s_mul_i32 s1, s21, s3
	s_mul_hi_u32 s5, s20, s3
	s_mul_i32 s0, s20, s3
	s_mul_i32 s3, s23, s2
	s_add_i32 s1, s5, s1
	s_mul_hi_u32 s5, s22, s2
	s_add_i32 s3, s5, s3
	s_mul_i32 s2, s22, s2
	s_cmpk_lg_i32 s16, 0x7a
	s_cbranch_scc0 .LBB9_40
; %bb.37:
	s_add_i32 s11, s18, -1
	s_ashr_i32 s5, s4, 31
	s_lshl_b64 s[6:7], s[2:3], 3
	s_lshl_b64 s[8:9], s[0:1], 3
	s_add_u32 s8, s6, s8
	s_addc_u32 s9, s7, s9
	s_mul_i32 s6, s5, s11
	s_mul_hi_u32 s7, s4, s11
	s_add_i32 s7, s7, s6
	s_mul_i32 s6, s4, s11
	s_lshl_b64 s[6:7], s[6:7], 3
	s_add_u32 s8, s8, s6
	s_addc_u32 s9, s9, s7
	s_lshl_b64 s[6:7], s[14:15], 3
	s_add_u32 s6, s8, s6
	s_addc_u32 s7, s9, s7
	s_add_u32 s6, s12, s6
	v_sub_u32_e32 v2, s11, v0
	s_addc_u32 s7, s13, s7
	s_lshl_b64 s[8:9], s[4:5], 3
	v_lshlrev_b32_e32 v4, 3, v2
	v_lshlrev_b32_e32 v2, 3, v0
	v_mov_b32_e32 v3, 0
	s_sub_u32 s8, 0, s8
	v_lshl_add_u64 v[2:3], s[6:7], 0, v[2:3]
	s_mov_b64 s[6:7], 0
	s_subb_u32 s9, 0, s9
.LBB9_38:                               ; =>This Inner Loop Header: Depth=1
	ds_read_b64 v[6:7], v4
	s_add_i32 s18, s18, -1
	v_cmp_le_u32_e32 vcc, s18, v0
	v_add_u32_e32 v4, s10, v4
	s_or_b64 s[6:7], vcc, s[6:7]
	s_waitcnt lgkmcnt(0)
	global_store_dwordx2 v[2:3], v[6:7], off
	v_lshl_add_u64 v[2:3], v[2:3], 0, s[8:9]
	s_andn2_b64 exec, exec, s[6:7]
	s_cbranch_execnz .LBB9_38
; %bb.39:
	s_or_b64 exec, exec, s[6:7]
	s_mov_b64 s[6:7], 0
.LBB9_40:
	s_and_b64 vcc, exec, s[6:7]
	s_cbranch_vccz .LBB9_43
; %bb.41:
	s_lshl_b64 s[0:1], s[0:1], 3
	s_add_u32 s5, s12, s0
	s_addc_u32 s6, s13, s1
	s_lshl_b64 s[0:1], s[14:15], 3
	s_add_u32 s5, s5, s0
	s_addc_u32 s6, s6, s1
	;; [unrolled: 3-line block ×3, first 2 shown]
	s_ashr_i32 s5, s4, 31
	v_lshlrev_b32_e32 v2, 3, v0
	v_mov_b32_e32 v3, 0
	v_lshl_add_u64 v[2:3], s[0:1], 0, v[2:3]
	v_add_u32_e32 v0, 1, v0
	s_lshl_b64 s[0:1], s[4:5], 3
	s_mov_b64 s[2:3], 0
.LBB9_42:                               ; =>This Inner Loop Header: Depth=1
	ds_read_b64 v[4:5], v1
	v_add_u32_e32 v0, -1, v0
	v_cmp_eq_u32_e32 vcc, 0, v0
	v_add_u32_e32 v1, s10, v1
	s_or_b64 s[2:3], vcc, s[2:3]
	s_waitcnt lgkmcnt(0)
	global_store_dwordx2 v[2:3], v[4:5], off
	v_lshl_add_u64 v[2:3], v[2:3], 0, s[0:1]
	s_andn2_b64 exec, exec, s[2:3]
	s_cbranch_execnz .LBB9_42
.LBB9_43:
	s_endpgm
	.section	.rodata,"a",@progbits
	.p2align	6, 0x0
	.amdhsa_kernel _ZL26rocblas_trtri_small_kernelILi16E19rocblas_complex_numIfEPKS1_PS1_Ev13rocblas_fill_17rocblas_diagonal_iT1_lillT2_lilli
		.amdhsa_group_segment_fixed_size 2048
		.amdhsa_private_segment_fixed_size 0
		.amdhsa_kernarg_size 100
		.amdhsa_user_sgpr_count 2
		.amdhsa_user_sgpr_dispatch_ptr 0
		.amdhsa_user_sgpr_queue_ptr 0
		.amdhsa_user_sgpr_kernarg_segment_ptr 1
		.amdhsa_user_sgpr_dispatch_id 0
		.amdhsa_user_sgpr_kernarg_preload_length 0
		.amdhsa_user_sgpr_kernarg_preload_offset 0
		.amdhsa_user_sgpr_private_segment_size 0
		.amdhsa_uses_dynamic_stack 0
		.amdhsa_enable_private_segment 0
		.amdhsa_system_sgpr_workgroup_id_x 1
		.amdhsa_system_sgpr_workgroup_id_y 0
		.amdhsa_system_sgpr_workgroup_id_z 1
		.amdhsa_system_sgpr_workgroup_info 0
		.amdhsa_system_vgpr_workitem_id 0
		.amdhsa_next_free_vgpr 16
		.amdhsa_next_free_sgpr 34
		.amdhsa_accum_offset 16
		.amdhsa_reserve_vcc 1
		.amdhsa_float_round_mode_32 0
		.amdhsa_float_round_mode_16_64 0
		.amdhsa_float_denorm_mode_32 3
		.amdhsa_float_denorm_mode_16_64 3
		.amdhsa_dx10_clamp 1
		.amdhsa_ieee_mode 1
		.amdhsa_fp16_overflow 0
		.amdhsa_tg_split 0
		.amdhsa_exception_fp_ieee_invalid_op 0
		.amdhsa_exception_fp_denorm_src 0
		.amdhsa_exception_fp_ieee_div_zero 0
		.amdhsa_exception_fp_ieee_overflow 0
		.amdhsa_exception_fp_ieee_underflow 0
		.amdhsa_exception_fp_ieee_inexact 0
		.amdhsa_exception_int_div_zero 0
	.end_amdhsa_kernel
	.section	.text._ZL26rocblas_trtri_small_kernelILi16E19rocblas_complex_numIfEPKS1_PS1_Ev13rocblas_fill_17rocblas_diagonal_iT1_lillT2_lilli,"axG",@progbits,_ZL26rocblas_trtri_small_kernelILi16E19rocblas_complex_numIfEPKS1_PS1_Ev13rocblas_fill_17rocblas_diagonal_iT1_lillT2_lilli,comdat
.Lfunc_end9:
	.size	_ZL26rocblas_trtri_small_kernelILi16E19rocblas_complex_numIfEPKS1_PS1_Ev13rocblas_fill_17rocblas_diagonal_iT1_lillT2_lilli, .Lfunc_end9-_ZL26rocblas_trtri_small_kernelILi16E19rocblas_complex_numIfEPKS1_PS1_Ev13rocblas_fill_17rocblas_diagonal_iT1_lillT2_lilli
                                        ; -- End function
	.set _ZL26rocblas_trtri_small_kernelILi16E19rocblas_complex_numIfEPKS1_PS1_Ev13rocblas_fill_17rocblas_diagonal_iT1_lillT2_lilli.num_vgpr, 16
	.set _ZL26rocblas_trtri_small_kernelILi16E19rocblas_complex_numIfEPKS1_PS1_Ev13rocblas_fill_17rocblas_diagonal_iT1_lillT2_lilli.num_agpr, 0
	.set _ZL26rocblas_trtri_small_kernelILi16E19rocblas_complex_numIfEPKS1_PS1_Ev13rocblas_fill_17rocblas_diagonal_iT1_lillT2_lilli.numbered_sgpr, 34
	.set _ZL26rocblas_trtri_small_kernelILi16E19rocblas_complex_numIfEPKS1_PS1_Ev13rocblas_fill_17rocblas_diagonal_iT1_lillT2_lilli.num_named_barrier, 0
	.set _ZL26rocblas_trtri_small_kernelILi16E19rocblas_complex_numIfEPKS1_PS1_Ev13rocblas_fill_17rocblas_diagonal_iT1_lillT2_lilli.private_seg_size, 0
	.set _ZL26rocblas_trtri_small_kernelILi16E19rocblas_complex_numIfEPKS1_PS1_Ev13rocblas_fill_17rocblas_diagonal_iT1_lillT2_lilli.uses_vcc, 1
	.set _ZL26rocblas_trtri_small_kernelILi16E19rocblas_complex_numIfEPKS1_PS1_Ev13rocblas_fill_17rocblas_diagonal_iT1_lillT2_lilli.uses_flat_scratch, 0
	.set _ZL26rocblas_trtri_small_kernelILi16E19rocblas_complex_numIfEPKS1_PS1_Ev13rocblas_fill_17rocblas_diagonal_iT1_lillT2_lilli.has_dyn_sized_stack, 0
	.set _ZL26rocblas_trtri_small_kernelILi16E19rocblas_complex_numIfEPKS1_PS1_Ev13rocblas_fill_17rocblas_diagonal_iT1_lillT2_lilli.has_recursion, 0
	.set _ZL26rocblas_trtri_small_kernelILi16E19rocblas_complex_numIfEPKS1_PS1_Ev13rocblas_fill_17rocblas_diagonal_iT1_lillT2_lilli.has_indirect_call, 0
	.section	.AMDGPU.csdata,"",@progbits
; Kernel info:
; codeLenInByte = 1668
; TotalNumSgprs: 40
; NumVgprs: 16
; NumAgprs: 0
; TotalNumVgprs: 16
; ScratchSize: 0
; MemoryBound: 0
; FloatMode: 240
; IeeeMode: 1
; LDSByteSize: 2048 bytes/workgroup (compile time only)
; SGPRBlocks: 4
; VGPRBlocks: 1
; NumSGPRsForWavesPerEU: 40
; NumVGPRsForWavesPerEU: 16
; AccumOffset: 16
; Occupancy: 8
; WaveLimiterHint : 0
; COMPUTE_PGM_RSRC2:SCRATCH_EN: 0
; COMPUTE_PGM_RSRC2:USER_SGPR: 2
; COMPUTE_PGM_RSRC2:TRAP_HANDLER: 0
; COMPUTE_PGM_RSRC2:TGID_X_EN: 1
; COMPUTE_PGM_RSRC2:TGID_Y_EN: 0
; COMPUTE_PGM_RSRC2:TGID_Z_EN: 1
; COMPUTE_PGM_RSRC2:TIDIG_COMP_CNT: 0
; COMPUTE_PGM_RSRC3_GFX90A:ACCUM_OFFSET: 3
; COMPUTE_PGM_RSRC3_GFX90A:TG_SPLIT: 0
	.section	.text._ZL29rocblas_trtri_diagonal_kernelILi16E19rocblas_complex_numIfEPKS1_PS1_Ev13rocblas_fill_17rocblas_diagonal_iT1_lillT2_lilli,"axG",@progbits,_ZL29rocblas_trtri_diagonal_kernelILi16E19rocblas_complex_numIfEPKS1_PS1_Ev13rocblas_fill_17rocblas_diagonal_iT1_lillT2_lilli,comdat
	.globl	_ZL29rocblas_trtri_diagonal_kernelILi16E19rocblas_complex_numIfEPKS1_PS1_Ev13rocblas_fill_17rocblas_diagonal_iT1_lillT2_lilli ; -- Begin function _ZL29rocblas_trtri_diagonal_kernelILi16E19rocblas_complex_numIfEPKS1_PS1_Ev13rocblas_fill_17rocblas_diagonal_iT1_lillT2_lilli
	.p2align	8
	.type	_ZL29rocblas_trtri_diagonal_kernelILi16E19rocblas_complex_numIfEPKS1_PS1_Ev13rocblas_fill_17rocblas_diagonal_iT1_lillT2_lilli,@function
_ZL29rocblas_trtri_diagonal_kernelILi16E19rocblas_complex_numIfEPKS1_PS1_Ev13rocblas_fill_17rocblas_diagonal_iT1_lillT2_lilli: ; @_ZL29rocblas_trtri_diagonal_kernelILi16E19rocblas_complex_numIfEPKS1_PS1_Ev13rocblas_fill_17rocblas_diagonal_iT1_lillT2_lilli
; %bb.0:
	s_load_dwordx4 s[20:23], s[0:1], 0x0
	s_waitcnt lgkmcnt(0)
	s_ashr_i32 s4, s22, 31
	s_lshr_b32 s4, s4, 27
	s_add_i32 s4, s22, s4
	s_ashr_i32 s4, s4, 5
	v_cvt_f32_u32_e32 v1, s4
	s_sub_i32 s5, 0, s4
	v_rcp_iflag_f32_e32 v1, v1
	s_nop 0
	v_mul_f32_e32 v1, 0x4f7ffffe, v1
	v_cvt_u32_f32_e32 v1, v1
	s_nop 0
	v_readfirstlane_b32 s6, v1
	s_mul_i32 s5, s5, s6
	s_mul_hi_u32 s5, s6, s5
	s_add_i32 s6, s6, s5
	s_mul_hi_u32 s5, s2, s6
	s_mul_i32 s6, s5, s4
	s_sub_i32 s6, s2, s6
	s_add_i32 s7, s5, 1
	s_sub_i32 s8, s6, s4
	s_cmp_ge_u32 s6, s4
	s_cselect_b32 s5, s7, s5
	s_cselect_b32 s6, s8, s6
	s_add_i32 s7, s5, 1
	s_cmp_ge_u32 s6, s4
	s_cselect_b32 s35, s7, s5
	s_mul_i32 s4, s35, s4
	s_sub_i32 s36, s2, s4
	s_lshl_b32 s2, s36, 4
	s_cmp_eq_u32 s22, s2
	s_cbranch_scc1 .LBB10_100
; %bb.1:
	s_sub_i32 s34, s22, s2
	s_min_u32 s33, s34, 16
	s_lshl_b32 s2, s33, 1
	v_cmp_gt_u32_e64 s[6:7], s33, v0
	v_cmp_le_u32_e64 s[4:5], s33, v0
	v_cmp_gt_u32_e64 s[8:9], s2, v0
	v_cmp_le_u32_e32 vcc, s2, v0
	v_mov_b32_e32 v2, v0
	s_and_saveexec_b64 s[10:11], s[4:5]
	s_cbranch_execz .LBB10_7
; %bb.2:
                                        ; implicit-def: $vgpr2
	s_and_saveexec_b64 s[12:13], vcc
	s_xor_b64 s[12:13], exec, s[12:13]
; %bb.3:
	v_subrev_u32_e32 v2, s2, v0
; %bb.4:
	s_andn2_saveexec_b64 s[12:13], s[12:13]
; %bb.5:
	v_subrev_u32_e32 v2, s33, v0
; %bb.6:
	s_or_b64 exec, exec, s[12:13]
.LBB10_7:
	s_or_b64 exec, exec, s[10:11]
	s_load_dwordx4 s[24:27], s[0:1], 0x10
	s_load_dword s10, s[0:1], 0x20
	s_load_dwordx8 s[12:19], s[0:1], 0x28
	v_mov_b32_e32 v1, 0x1800
	v_cndmask_b32_e64 v1, 0, v1, s[8:9]
	v_mov_b32_e32 v3, 0x1000
	v_cndmask_b32_e64 v8, v1, v3, s[6:7]
	s_waitcnt lgkmcnt(0)
	s_ashr_i32 s11, s10, 31
	s_mul_i32 s2, s13, s3
	s_mul_hi_u32 s6, s12, s3
	s_add_i32 s7, s6, s2
	s_mul_i32 s6, s12, s3
	s_lshl_b64 s[12:13], s[10:11], 5
	s_add_u32 s2, s12, 32
	s_addc_u32 s12, s13, 0
	s_mul_i32 s12, s12, s36
	s_mul_hi_u32 s13, s2, s36
	s_add_i32 s13, s13, s12
	s_mul_i32 s12, s2, s36
	s_mul_i32 s2, s15, s35
	s_mul_hi_u32 s15, s14, s35
	s_add_i32 s15, s15, s2
	s_mul_i32 s14, s14, s35
	s_and_saveexec_b64 s[22:23], vcc
	s_xor_b64 s[22:23], exec, s[22:23]
	s_cbranch_execz .LBB10_17
; %bb.8:
	s_mul_i32 s2, s33, 3
	v_cmp_gt_u32_e32 vcc, s2, v0
	s_and_saveexec_b64 s[28:29], vcc
	s_cbranch_execz .LBB10_16
; %bb.9:
	s_cmpk_eq_i32 s20, 0x7a
	s_mov_b64 s[30:31], -1
	s_cbranch_scc1 .LBB10_13
; %bb.10:
	s_add_i32 s30, s33, -1
	s_mul_i32 s31, s33, s30
	s_lshl_b32 s42, s33, 3
	s_add_i32 s2, s33, 1
	s_lshl_b32 s31, s31, 3
	s_sub_i32 s37, 0, s42
	s_lshl_b64 s[38:39], s[14:15], 3
	s_lshl_b64 s[40:41], s[6:7], 3
	s_add_u32 s40, s38, s40
	v_lshlrev_b32_e32 v1, 3, v2
	s_addc_u32 s41, s39, s41
	s_lshl_b64 s[38:39], s[12:13], 3
	v_add3_u32 v1, s31, v1, v8
	s_mov_b32 s31, 0
	s_add_u32 s38, s40, s38
	s_addc_u32 s39, s41, s39
	s_lshl_b64 s[30:31], s[30:31], 3
	s_add_u32 s30, s42, s30
	s_addc_u32 s31, 0, s31
	s_mul_i32 s40, s30, s11
	s_mul_hi_u32 s41, s30, s10
	s_add_i32 s40, s41, s40
	s_mul_i32 s31, s31, s10
	s_add_i32 s40, s40, s31
	s_mul_i32 s30, s30, s10
	s_add_u32 s38, s38, s30
	s_addc_u32 s39, s39, s40
	s_lshl_b64 s[30:31], s[26:27], 3
	s_add_u32 s30, s38, s30
	s_addc_u32 s31, s39, s31
	s_add_u32 s30, s24, s30
	v_ashrrev_i32_e32 v3, 31, v2
	s_addc_u32 s31, s25, s31
	v_lshl_add_u64 v[4:5], v[2:3], 3, s[30:31]
	s_lshl_b64 s[30:31], s[10:11], 3
	s_sub_u32 s30, 0, s30
	s_subb_u32 s31, 0, s31
.LBB10_11:                              ; =>This Inner Loop Header: Depth=1
	global_load_dwordx2 v[6:7], v[4:5], off
	s_add_i32 s2, s2, -1
	v_lshl_add_u64 v[4:5], v[4:5], 0, s[30:31]
	s_cmp_gt_u32 s2, 1
	s_waitcnt vmcnt(0)
	ds_write_b64 v1, v[6:7]
	v_add_u32_e32 v1, s37, v1
	s_cbranch_scc1 .LBB10_11
; %bb.12:
	s_mov_b64 s[30:31], 0
.LBB10_13:
	s_and_b64 vcc, exec, s[30:31]
	s_cbranch_vccz .LBB10_16
; %bb.14:
	s_lshl_b64 s[30:31], s[6:7], 3
	s_add_u32 s2, s24, s30
	s_addc_u32 s37, s25, s31
	s_lshl_b64 s[30:31], s[26:27], 3
	s_add_u32 s2, s2, s30
	s_addc_u32 s37, s37, s31
	;; [unrolled: 3-line block ×3, first 2 shown]
	s_lshl_b64 s[30:31], s[14:15], 3
	s_add_u32 s30, s2, s30
	v_add_u32_e32 v4, s33, v2
	s_addc_u32 s31, s37, s31
	v_ashrrev_i32_e32 v5, 31, v4
	v_lshl_add_u64 v[4:5], v[4:5], 3, s[30:31]
	v_lshl_add_u32 v1, v2, 3, v8
	s_lshl_b32 s2, s33, 3
	s_lshl_b64 s[30:31], s[10:11], 3
	s_mov_b32 s37, s33
.LBB10_15:                              ; =>This Inner Loop Header: Depth=1
	global_load_dwordx2 v[6:7], v[4:5], off
	s_add_i32 s37, s37, -1
	v_lshl_add_u64 v[4:5], v[4:5], 0, s[30:31]
	s_cmp_eq_u32 s37, 0
	s_waitcnt vmcnt(0)
	ds_write_b64 v1, v[6:7]
	v_add_u32_e32 v1, s2, v1
	s_cbranch_scc0 .LBB10_15
.LBB10_16:
	s_or_b64 exec, exec, s[28:29]
.LBB10_17:
	s_andn2_saveexec_b64 s[22:23], s[22:23]
	s_cbranch_execz .LBB10_31
; %bb.18:
	v_mov_b64_e32 v[4:5], 0
	s_and_saveexec_b64 s[28:29], s[4:5]
	s_cbranch_execnz .LBB10_21
; %bb.19:
	s_or_b64 exec, exec, s[28:29]
	s_cmpk_lg_i32 s20, 0x7a
	s_mov_b64 s[28:29], -1
	s_cbranch_scc1 .LBB10_22
.LBB10_20:
	s_and_b64 vcc, exec, s[28:29]
	s_cbranch_vccnz .LBB10_27
	s_branch .LBB10_31
.LBB10_21:
	s_add_u32 s2, s10, 1
	s_addc_u32 s30, s11, 0
	s_mul_i32 s30, s30, s33
	s_mul_hi_u32 s31, s2, s33
	s_add_i32 s31, s31, s30
	s_mul_i32 s30, s2, s33
	v_mov_b64_e32 v[4:5], s[30:31]
	s_or_b64 exec, exec, s[28:29]
	s_cmpk_lg_i32 s20, 0x7a
	s_mov_b64 s[28:29], -1
	s_cbranch_scc0 .LBB10_20
.LBB10_22:
	s_add_i32 s2, s33, -1
	s_lshl_b64 s[28:29], s[14:15], 3
	s_lshl_b64 s[30:31], s[6:7], 3
	s_add_u32 s30, s28, s30
	s_addc_u32 s31, s29, s31
	s_lshl_b64 s[28:29], s[12:13], 3
	s_add_u32 s30, s30, s28
	s_addc_u32 s31, s31, s29
	s_mul_i32 s28, s11, s2
	s_mul_hi_u32 s29, s10, s2
	s_add_i32 s29, s29, s28
	s_mul_i32 s28, s10, s2
	s_lshl_b64 s[28:29], s[28:29], 3
	v_sub_u32_e32 v1, s2, v2
	s_add_u32 s2, s30, s28
	s_addc_u32 s30, s31, s29
	s_lshl_b64 s[28:29], s[26:27], 3
	s_add_u32 s28, s28, s2
	s_addc_u32 s29, s29, s30
	v_ashrrev_i32_e32 v3, 31, v2
	v_lshl_add_u64 v[6:7], v[4:5], 3, s[28:29]
	s_lshl_b64 s[28:29], s[10:11], 3
	v_lshl_add_u64 v[6:7], v[2:3], 3, v[6:7]
	s_sub_u32 s28, 0, s28
	v_lshl_add_u32 v1, v1, 3, v8
	v_lshl_add_u64 v[6:7], s[24:25], 0, v[6:7]
	s_subb_u32 s29, 0, s29
	s_lshl_b32 s2, s33, 3
	s_mov_b32 s37, s33
	s_branch .LBB10_24
.LBB10_23:                              ;   in Loop: Header=BB10_24 Depth=1
	s_or_b64 exec, exec, s[30:31]
	s_waitcnt vmcnt(0)
	ds_write_b64 v1, v[10:11]
	v_lshl_add_u64 v[6:7], v[6:7], 0, s[28:29]
	s_cmp_lt_i32 s37, 1
	v_add_u32_e32 v1, s2, v1
	s_cbranch_scc1 .LBB10_26
.LBB10_24:                              ; =>This Inner Loop Header: Depth=1
	s_add_i32 s37, s37, -1
	v_cmp_ge_i32_e32 vcc, s37, v2
	v_mov_b32_e32 v10, 0
	v_mov_b32_e32 v11, 0
	s_and_saveexec_b64 s[30:31], vcc
	s_cbranch_execz .LBB10_23
; %bb.25:                               ;   in Loop: Header=BB10_24 Depth=1
	global_load_dwordx2 v[10:11], v[6:7], off
	s_branch .LBB10_23
.LBB10_26:
	s_branch .LBB10_31
.LBB10_27:
	s_lshl_b64 s[14:15], s[14:15], 3
	s_lshl_b64 s[6:7], s[6:7], 3
	s_add_u32 s2, s14, s6
	s_addc_u32 s14, s15, s7
	s_lshl_b64 s[6:7], s[12:13], 3
	s_add_u32 s2, s2, s6
	s_addc_u32 s12, s14, s7
	;; [unrolled: 3-line block ×3, first 2 shown]
	v_ashrrev_i32_e32 v3, 31, v2
	v_lshl_add_u64 v[4:5], v[4:5], 3, s[6:7]
	v_lshl_add_u64 v[4:5], v[2:3], 3, v[4:5]
	v_lshl_add_u32 v1, v2, 3, v8
	v_lshl_add_u64 v[4:5], s[24:25], 0, v[4:5]
	s_lshl_b64 s[6:7], s[10:11], 3
	s_lshl_b32 s2, s33, 3
	s_mov_b32 s12, 0
	s_branch .LBB10_29
.LBB10_28:                              ;   in Loop: Header=BB10_29 Depth=1
	s_or_b64 exec, exec, s[10:11]
	s_add_i32 s12, s12, 1
	s_waitcnt vmcnt(0)
	ds_write_b64 v1, v[6:7]
	v_lshl_add_u64 v[4:5], v[4:5], 0, s[6:7]
	s_cmp_eq_u32 s33, s12
	v_add_u32_e32 v1, s2, v1
	s_cbranch_scc1 .LBB10_31
.LBB10_29:                              ; =>This Inner Loop Header: Depth=1
	v_cmp_le_i32_e32 vcc, s12, v2
	v_mov_b32_e32 v6, 0
	v_mov_b32_e32 v7, 0
	s_and_saveexec_b64 s[10:11], vcc
	s_cbranch_execz .LBB10_28
; %bb.30:                               ;   in Loop: Header=BB10_29 Depth=1
	global_load_dwordx2 v[6:7], v[4:5], off
	s_branch .LBB10_28
.LBB10_31:
	s_or_b64 exec, exec, s[22:23]
	s_waitcnt lgkmcnt(0)
	s_barrier
	s_and_saveexec_b64 s[10:11], s[8:9]
	s_cbranch_execz .LBB10_44
; %bb.32:
	s_add_i32 s2, s33, 1
	v_mul_i32_i24_e32 v1, s2, v2
	s_cmpk_lg_i32 s21, 0x84
	v_lshl_add_u32 v1, v1, 3, v8
	s_mov_b64 s[6:7], -1
	s_cbranch_scc0 .LBB10_42
; %bb.33:
	ds_read_b64 v[4:5], v1
	s_waitcnt lgkmcnt(0)
	v_cmp_neq_f32_e32 vcc, 0, v4
	v_cmp_neq_f32_e64 s[6:7], 0, v5
	s_or_b64 s[6:7], vcc, s[6:7]
	s_and_saveexec_b64 s[12:13], s[6:7]
	s_xor_b64 s[6:7], exec, s[12:13]
	s_cbranch_execz .LBB10_39
; %bb.34:
	v_cmp_ngt_f32_e64 s[12:13], |v4|, |v5|
                                        ; implicit-def: $vgpr6_vgpr7
	s_and_saveexec_b64 s[14:15], s[12:13]
	s_xor_b64 s[12:13], exec, s[14:15]
	s_cbranch_execz .LBB10_36
; %bb.35:
	v_div_scale_f32 v3, s[14:15], v5, v5, v4
	v_rcp_f32_e32 v6, v3
	v_div_scale_f32 v7, vcc, v4, v5, v4
	v_fma_f32 v9, -v3, v6, 1.0
	v_fmac_f32_e32 v6, v9, v6
	v_mul_f32_e32 v9, v7, v6
	v_fma_f32 v10, -v3, v9, v7
	v_fmac_f32_e32 v9, v10, v6
	v_fma_f32 v3, -v3, v9, v7
	v_div_fmas_f32 v3, v3, v6, v9
	v_div_fixup_f32 v3, v3, v5, v4
	v_fmac_f32_e32 v5, v4, v3
	v_div_scale_f32 v4, s[14:15], v5, v5, 1.0
	v_rcp_f32_e32 v6, v4
	s_nop 0
	v_fma_f32 v7, -v4, v6, 1.0
	v_fmac_f32_e32 v6, v7, v6
	v_div_scale_f32 v7, vcc, 1.0, v5, 1.0
	v_mul_f32_e32 v9, v7, v6
	v_fma_f32 v10, -v4, v9, v7
	v_fmac_f32_e32 v9, v10, v6
	v_fma_f32 v4, -v4, v9, v7
	v_div_fmas_f32 v4, v4, v6, v9
	v_div_fixup_f32 v4, v4, v5, 1.0
	v_mul_f32_e32 v6, v3, v4
	v_xor_b32_e32 v7, 0x80000000, v4
                                        ; implicit-def: $vgpr4_vgpr5
.LBB10_36:
	s_andn2_saveexec_b64 s[12:13], s[12:13]
	s_cbranch_execz .LBB10_38
; %bb.37:
	v_div_scale_f32 v3, s[14:15], v4, v4, v5
	v_rcp_f32_e32 v6, v3
	v_div_scale_f32 v7, vcc, v5, v4, v5
	v_fma_f32 v9, -v3, v6, 1.0
	v_fmac_f32_e32 v6, v9, v6
	v_mul_f32_e32 v9, v7, v6
	v_fma_f32 v10, -v3, v9, v7
	v_fmac_f32_e32 v9, v10, v6
	v_fma_f32 v3, -v3, v9, v7
	v_div_fmas_f32 v3, v3, v6, v9
	v_div_fixup_f32 v3, v3, v4, v5
	v_fmac_f32_e32 v4, v5, v3
	v_div_scale_f32 v5, s[14:15], v4, v4, 1.0
	v_rcp_f32_e32 v6, v5
	s_nop 0
	v_fma_f32 v7, -v5, v6, 1.0
	v_fmac_f32_e32 v6, v7, v6
	v_div_scale_f32 v7, vcc, 1.0, v4, 1.0
	v_mul_f32_e32 v9, v7, v6
	v_fma_f32 v10, -v5, v9, v7
	v_fmac_f32_e32 v9, v10, v6
	v_fma_f32 v5, -v5, v9, v7
	v_div_fmas_f32 v5, v5, v6, v9
	v_div_fixup_f32 v6, v5, v4, 1.0
	v_mul_f32_e64 v7, v3, -v6
.LBB10_38:
	s_or_b64 exec, exec, s[12:13]
	ds_write_b64 v1, v[6:7]
.LBB10_39:
	s_andn2_saveexec_b64 s[6:7], s[6:7]
; %bb.40:
	v_mov_b32_e32 v4, 1.0
	v_mov_b32_e32 v5, 0
	ds_write_b64 v1, v[4:5]
; %bb.41:
	s_or_b64 exec, exec, s[6:7]
	s_mov_b64 s[6:7], 0
.LBB10_42:
	s_andn2_b64 vcc, exec, s[6:7]
	s_cbranch_vccnz .LBB10_44
; %bb.43:
	v_mov_b32_e32 v4, 1.0
	v_mov_b32_e32 v5, 0
	ds_write_b64 v1, v[4:5]
.LBB10_44:
	s_or_b64 exec, exec, s[10:11]
	s_waitcnt lgkmcnt(0)
	s_barrier
	s_and_saveexec_b64 s[6:7], s[8:9]
	s_cbranch_execz .LBB10_56
; %bb.45:
	s_add_i32 s2, s33, 1
	v_lshlrev_b32_e32 v4, 3, v2
	v_mul_i32_i24_e32 v3, s2, v2
	s_lshl_b32 s2, s33, 3
	v_add_u32_e32 v1, v8, v4
	v_lshl_add_u32 v3, v3, 3, v8
	v_add3_u32 v5, v4, s2, v8
	v_add_u32_e32 v6, 8, v8
	s_add_i32 s12, s2, 8
	s_mov_b32 s13, 0
	s_branch .LBB10_47
.LBB10_46:                              ;   in Loop: Header=BB10_47 Depth=1
	v_add_u32_e32 v5, s2, v5
	s_cmp_eq_u32 s13, s33
	v_add_u32_e32 v6, s12, v6
	s_cbranch_scc1 .LBB10_56
.LBB10_47:                              ; =>This Loop Header: Depth=1
                                        ;     Child Loop BB10_52 Depth 2
	v_cmp_lt_i32_e32 vcc, s13, v2
	v_mov_b32_e32 v7, 0
	s_mul_i32 s14, s13, s33
	v_mov_b32_e32 v4, 0
	s_and_saveexec_b64 s[10:11], vcc
	s_cbranch_execz .LBB10_49
; %bb.48:                               ;   in Loop: Header=BB10_47 Depth=1
	s_lshl_b32 s15, s14, 3
	s_lshl_b32 s21, s13, 3
	v_add_u32_e32 v4, s15, v1
	s_add_i32 s15, s15, s21
	v_add_u32_e32 v7, s15, v8
	ds_read_b64 v[10:11], v4
	ds_read_b64 v[12:13], v7
	s_waitcnt lgkmcnt(0)
	v_mul_f32_e32 v4, v13, v11
	v_mul_f32_e32 v9, v12, v11
	v_fma_f32 v4, v12, v10, -v4
	v_fmac_f32_e32 v9, v13, v10
	v_add_f32_e32 v7, 0, v4
	v_add_f32_e32 v4, 0, v9
.LBB10_49:                              ;   in Loop: Header=BB10_47 Depth=1
	s_or_b64 exec, exec, s[10:11]
	s_add_i32 s13, s13, 1
	s_cmp_ge_u32 s13, s33
	s_cbranch_scc1 .LBB10_46
; %bb.50:                               ;   in Loop: Header=BB10_47 Depth=1
	v_lshl_add_u32 v9, s14, 3, v1
	v_mov_b32_e32 v10, v6
	v_mov_b32_e32 v11, v5
	s_mov_b32 s14, s13
	s_branch .LBB10_52
.LBB10_51:                              ;   in Loop: Header=BB10_52 Depth=2
	s_or_b64 exec, exec, s[10:11]
	s_add_i32 s14, s14, 1
	v_add_u32_e32 v11, s2, v11
	s_cmp_eq_u32 s33, s14
	v_add_u32_e32 v10, 8, v10
	s_cbranch_scc1 .LBB10_46
.LBB10_52:                              ;   Parent Loop BB10_47 Depth=1
                                        ; =>  This Inner Loop Header: Depth=2
	v_cmp_eq_u32_e32 vcc, s14, v2
	s_and_saveexec_b64 s[10:11], vcc
	s_cbranch_execz .LBB10_54
; %bb.53:                               ;   in Loop: Header=BB10_52 Depth=2
	ds_read_b64 v[12:13], v3
	v_sub_f32_e32 v14, 0, v7
	s_waitcnt lgkmcnt(0)
	v_pk_mul_f32 v[16:17], v[4:5], v[12:13] op_sel:[0,1] op_sel_hi:[0,0]
	v_pk_fma_f32 v[18:19], v[14:15], v[12:13], v[16:17]
	v_pk_fma_f32 v[12:13], v[14:15], v[12:13], v[16:17] op_sel_hi:[0,1,1] neg_lo:[0,0,1] neg_hi:[0,0,1]
	v_mov_b32_e32 v19, v13
	ds_write_b64 v9, v[18:19]
.LBB10_54:                              ;   in Loop: Header=BB10_52 Depth=2
	s_or_b64 exec, exec, s[10:11]
	v_cmp_lt_i32_e32 vcc, s14, v2
	s_and_saveexec_b64 s[10:11], vcc
	s_cbranch_execz .LBB10_51
; %bb.55:                               ;   in Loop: Header=BB10_52 Depth=2
	ds_read_b64 v[12:13], v11
	ds_read_b64 v[14:15], v10
	s_waitcnt lgkmcnt(0)
	v_mul_f32_e32 v16, v15, v13
	v_mul_f32_e32 v13, v14, v13
	v_fma_f32 v14, v14, v12, -v16
	v_fmac_f32_e32 v13, v15, v12
	v_add_f32_e32 v7, v7, v14
	v_add_f32_e32 v4, v4, v13
	s_branch .LBB10_51
.LBB10_56:
	s_or_b64 exec, exec, s[6:7]
	s_and_b32 s2, s33, 0xffff
	v_cvt_f32_u32_e32 v1, s2
	v_cvt_f32_ubyte0_e32 v3, v0
	s_cmpk_lg_i32 s20, 0x7a
	s_cselect_b64 s[10:11], -1, 0
	v_rcp_iflag_f32_e32 v4, v1
	s_mul_i32 s2, s33, s33
	v_cmp_gt_u32_e64 s[6:7], s2, v0
	s_waitcnt lgkmcnt(0)
	v_mul_f32_e32 v4, v3, v4
	v_trunc_f32_e32 v4, v4
	v_cvt_u32_f32_e32 v5, v4
	v_fma_f32 v3, -v4, v1, v3
	v_cmp_ge_f32_e64 vcc, |v3|, v1
	s_barrier
	s_nop 0
	v_addc_co_u32_e32 v1, vcc, 0, v5, vcc
	v_and_b32_e32 v6, 0xffff, v1
	v_mul_lo_u16_e32 v1, s33, v1
	v_sub_u16_e32 v3, v0, v1
	s_and_b64 vcc, exec, s[10:11]
	s_cbranch_vccz .LBB10_62
; %bb.57:
	s_mov_b64 s[14:15], 0
	s_mov_b64 s[12:13], 0
                                        ; implicit-def: $vgpr0
                                        ; implicit-def: $vgpr1
	s_and_saveexec_b64 s[20:21], s[6:7]
	s_cbranch_execz .LBB10_61
; %bb.58:
	v_lshlrev_b32_e32 v1, 7, v6
	v_lshlrev_b32_e32 v4, 3, v3
	v_sub_u32_e32 v5, 0x1ff8, v1
	v_mov_b32_e32 v0, 0
	s_mov_b32 s2, -1
	v_mov_b32_e32 v7, 0
.LBB10_59:                              ; =>This Inner Loop Header: Depth=1
	ds_read_b64 v[10:11], v4
	ds_read_b64 v[12:13], v5
	s_add_i32 s2, s2, 1
	v_cmp_ge_u32_e32 vcc, s2, v6
	v_add_u32_e32 v5, -8, v5
	v_add_u32_e32 v4, 0x80, v4
	s_waitcnt lgkmcnt(0)
	v_mul_f32_e32 v9, v13, v11
	v_mul_f32_e32 v11, v12, v11
	v_fma_f32 v9, v12, v10, -v9
	v_fmac_f32_e32 v11, v13, v10
	s_or_b64 s[12:13], vcc, s[12:13]
	v_add_f32_e32 v7, v7, v9
	v_add_f32_e32 v0, v0, v11
	s_andn2_b64 exec, exec, s[12:13]
	s_cbranch_execnz .LBB10_59
; %bb.60:
	s_or_b64 exec, exec, s[12:13]
	v_lshl_add_u32 v4, v3, 3, v1
	s_mov_b64 s[12:13], exec
	v_add_u32_e32 v1, 0x800, v4
	ds_write_b32 v4, v7 offset:2048
.LBB10_61:
	s_or_b64 exec, exec, s[20:21]
	s_and_b64 vcc, exec, s[14:15]
	s_cbranch_vccnz .LBB10_63
	s_branch .LBB10_72
.LBB10_62:
	s_mov_b64 s[12:13], 0
                                        ; implicit-def: $vgpr0
                                        ; implicit-def: $vgpr1
	s_cbranch_execz .LBB10_72
.LBB10_63:
                                        ; implicit-def: $vgpr0
                                        ; implicit-def: $vgpr1
	s_and_saveexec_b64 s[14:15], s[6:7]
	s_cbranch_execz .LBB10_71
; %bb.64:
	v_cmp_lt_u16_e32 vcc, 15, v6
	v_lshlrev_b32_e32 v1, 7, v6
	s_and_saveexec_b64 s[20:21], vcc
	s_xor_b64 s[20:21], exec, s[20:21]
; %bb.65:
	v_lshlrev_b32_e32 v1, 7, v6
; %bb.66:
	s_or_saveexec_b64 s[20:21], s[20:21]
	v_mov_b32_e32 v0, 0
	v_mov_b32_e32 v4, 0
	s_xor_b64 exec, exec, s[20:21]
	s_cbranch_execz .LBB10_70
; %bb.67:
	s_movk_i32 s2, 0x88
	v_mov_b32_e32 v0, 0x1000
	v_add_u32_e32 v5, -1, v6
	v_mad_u32_u24 v7, v6, s2, v0
	v_lshl_add_u32 v9, v3, 3, v1
	v_mov_b32_e32 v0, 0
	s_mov_b64 s[22:23], 0
	v_mov_b32_e32 v4, 0
.LBB10_68:                              ; =>This Inner Loop Header: Depth=1
	ds_read_b64 v[10:11], v9
	ds_read_b64 v[12:13], v7
	v_add_u32_e32 v5, 1, v5
	v_cmp_lt_u32_e32 vcc, 14, v5
	v_add_u32_e32 v7, 8, v7
	v_add_u32_e32 v9, 0x80, v9
	s_waitcnt lgkmcnt(0)
	v_mul_f32_e32 v14, v13, v11
	v_mul_f32_e32 v11, v12, v11
	v_fma_f32 v12, v12, v10, -v14
	v_fmac_f32_e32 v11, v13, v10
	s_or_b64 s[22:23], vcc, s[22:23]
	v_add_f32_e32 v4, v4, v12
	v_add_f32_e32 v0, v0, v11
	s_andn2_b64 exec, exec, s[22:23]
	s_cbranch_execnz .LBB10_68
; %bb.69:
	s_or_b64 exec, exec, s[22:23]
.LBB10_70:
	s_or_b64 exec, exec, s[20:21]
	v_lshl_add_u32 v5, v3, 3, v1
	v_add_u32_e32 v1, 0x800, v5
	ds_write_b32 v5, v4 offset:2048
	s_or_b64 s[12:13], s[12:13], exec
.LBB10_71:
	s_or_b64 exec, exec, s[14:15]
.LBB10_72:
	s_and_saveexec_b64 s[14:15], s[12:13]
; %bb.73:
	ds_write_b32 v1, v0 offset:4
; %bb.74:
	s_or_b64 exec, exec, s[14:15]
	s_load_dword s12, s[0:1], 0x48
	s_load_dwordx4 s[20:23], s[0:1], 0x50
	s_waitcnt lgkmcnt(0)
	s_barrier
	s_ashr_i32 s13, s12, 31
	s_mul_i32 s1, s21, s3
	s_mul_hi_u32 s2, s20, s3
	s_mul_i32 s0, s20, s3
	s_add_i32 s1, s2, s1
	s_lshl_b64 s[14:15], s[0:1], 3
	s_add_u32 s0, s16, s14
	s_addc_u32 s1, s17, s15
	s_lshl_b64 s[2:3], s[18:19], 3
	s_add_u32 s20, s0, s2
	s_addc_u32 s21, s1, s3
	;; [unrolled: 3-line block ×3, first 2 shown]
	s_mul_i32 s1, s1, s36
	s_mul_hi_u32 s18, s0, s36
	s_add_i32 s1, s18, s1
	s_mul_i32 s0, s0, s36
	s_lshl_b64 s[18:19], s[0:1], 3
	s_add_u32 s24, s20, s18
	s_mul_i32 s0, s23, s35
	s_mul_hi_u32 s1, s22, s35
	s_addc_u32 s25, s21, s19
	s_add_i32 s1, s1, s0
	s_mul_i32 s0, s22, s35
	s_lshl_b64 s[20:21], s[0:1], 3
	s_add_u32 s0, s24, s20
	s_addc_u32 s1, s25, s21
	s_and_b64 vcc, exec, s[10:11]
	s_cbranch_vccz .LBB10_80
; %bb.75:
	s_mov_b64 s[24:25], 0
	s_mov_b64 s[22:23], 0
                                        ; implicit-def: $vgpr1
                                        ; implicit-def: $vgpr4_vgpr5
	s_and_saveexec_b64 s[26:27], s[6:7]
	s_cbranch_execz .LBB10_79
; %bb.76:
	v_mul_u32_u24_e32 v0, s33, v6
	v_lshlrev_b32_e32 v0, 3, v0
	v_lshlrev_b32_e32 v4, 3, v3
	s_movk_i32 s22, 0x800
	v_add3_u32 v7, v0, v4, s22
	s_lshl_b32 s22, s33, 3
	v_sub_u32_e32 v0, s22, v4
	v_mul_i32_i24_e32 v0, s33, v0
	v_sub_u32_e32 v0, v0, v4
	v_add_u32_e32 v9, 0xff8, v0
	v_mov_b32_e32 v0, 0
	v_add_u32_e32 v5, -1, v3
	s_sub_i32 s28, 0, s22
	s_mov_b64 s[22:23], 0
	v_mov_b32_e32 v1, v0
.LBB10_77:                              ; =>This Inner Loop Header: Depth=1
	ds_read_b64 v[10:11], v9
	ds_read_b64 v[12:13], v7
	v_add_u32_e32 v5, 1, v5
	v_cmp_lt_u32_e32 vcc, 14, v5
	v_add_u32_e32 v7, 8, v7
	v_add_u32_e32 v9, s28, v9
	s_waitcnt lgkmcnt(0)
	v_pk_mul_f32 v[14:15], v[12:13], v[10:11] op_sel:[0,1] neg_lo:[0,1]
	s_or_b64 s[22:23], vcc, s[22:23]
	v_pk_fma_f32 v[10:11], v[10:11], v[12:13], v[14:15] op_sel:[0,0,1] op_sel_hi:[0,1,0] neg_lo:[1,0,0] neg_hi:[1,0,0]
	v_pk_add_f32 v[0:1], v[0:1], v[10:11]
	s_andn2_b64 exec, exec, s[22:23]
	s_cbranch_execnz .LBB10_77
; %bb.78:
	s_or_b64 exec, exec, s[22:23]
	s_mul_hi_i32 s29, s33, s12
	s_mul_i32 s28, s33, s12
	s_lshl_b64 s[28:29], s[28:29], 3
	s_add_u32 s28, s0, s28
	s_addc_u32 s29, s1, s29
	v_mov_b32_e32 v5, 0
	v_mad_i64_i32 v[10:11], s[30:31], v6, s12, 0
	v_lshl_add_u64 v[4:5], s[28:29], 0, v[4:5]
	s_mov_b64 s[22:23], exec
	v_lshl_add_u64 v[4:5], v[10:11], 3, v[4:5]
	global_store_dword v[4:5], v0, off
.LBB10_79:
	s_or_b64 exec, exec, s[26:27]
	s_and_b64 vcc, exec, s[24:25]
	s_cbranch_vccnz .LBB10_81
	s_branch .LBB10_86
.LBB10_80:
	s_mov_b64 s[22:23], 0
                                        ; implicit-def: $vgpr1
                                        ; implicit-def: $vgpr4_vgpr5
	s_cbranch_execz .LBB10_86
.LBB10_81:
                                        ; implicit-def: $vgpr1
                                        ; implicit-def: $vgpr4_vgpr5
	s_and_saveexec_b64 s[24:25], s[6:7]
	s_cbranch_execz .LBB10_85
; %bb.82:
	v_mov_b32_e32 v0, 0x1800
	v_lshl_add_u32 v4, v3, 3, v0
	v_mul_u32_u24_e32 v0, s33, v6
	v_mov_b32_e32 v1, 0x800
	v_lshl_add_u32 v5, v0, 3, v1
	v_mov_b32_e32 v0, 0
	s_lshl_b32 s26, s33, 3
	s_mov_b32 s27, -1
	s_mov_b64 s[6:7], 0
	v_mov_b32_e32 v1, v0
.LBB10_83:                              ; =>This Inner Loop Header: Depth=1
	ds_read_b64 v[10:11], v4
	ds_read_b64 v[12:13], v5
	s_add_i32 s27, s27, 1
	v_cmp_ge_u32_e32 vcc, s27, v3
	v_add_u32_e32 v5, 8, v5
	v_add_u32_e32 v4, s26, v4
	s_waitcnt lgkmcnt(0)
	v_pk_mul_f32 v[14:15], v[12:13], v[10:11] op_sel:[0,1] neg_lo:[0,1]
	s_or_b64 s[6:7], vcc, s[6:7]
	v_pk_fma_f32 v[10:11], v[10:11], v[12:13], v[14:15] op_sel:[0,0,1] op_sel_hi:[0,1,0] neg_lo:[1,0,0] neg_hi:[1,0,0]
	v_pk_add_f32 v[0:1], v[0:1], v[10:11]
	s_andn2_b64 exec, exec, s[6:7]
	s_cbranch_execnz .LBB10_83
; %bb.84:
	s_or_b64 exec, exec, s[6:7]
	v_mad_i64_i32 v[4:5], s[6:7], v6, s12, 0
	v_lshl_add_u64 v[4:5], v[4:5], 3, s[0:1]
	v_add_lshl_u32 v6, s33, v3, 3
	v_mov_b32_e32 v7, 0
	v_lshl_add_u64 v[4:5], v[4:5], 0, v[6:7]
	s_or_b64 s[22:23], s[22:23], exec
	global_store_dword v[4:5], v0, off
.LBB10_85:
	s_or_b64 exec, exec, s[24:25]
.LBB10_86:
	s_and_saveexec_b64 s[6:7], s[22:23]
	s_cbranch_execz .LBB10_88
; %bb.87:
	global_store_dword v[4:5], v1, off offset:4
.LBB10_88:
	s_or_b64 exec, exec, s[6:7]
	s_and_saveexec_b64 s[6:7], s[8:9]
	s_cbranch_execz .LBB10_100
; %bb.89:
	v_mov_b64_e32 v[0:1], 0
	s_and_saveexec_b64 s[6:7], s[4:5]
	s_cbranch_execnz .LBB10_92
; %bb.90:
	s_or_b64 exec, exec, s[6:7]
	s_mov_b64 s[4:5], -1
	s_and_b64 vcc, exec, s[10:11]
	s_cbranch_vccnz .LBB10_93
.LBB10_91:
	s_andn2_b64 vcc, exec, s[4:5]
	s_cbranch_vccz .LBB10_97
	s_branch .LBB10_100
.LBB10_92:
	s_add_u32 s4, s12, 1
	s_addc_u32 s5, s13, 0
	s_mul_i32 s5, s5, s33
	s_mul_hi_u32 s8, s4, s33
	s_add_i32 s5, s8, s5
	s_mul_i32 s4, s4, s33
	v_mov_b64_e32 v[0:1], s[4:5]
	s_or_b64 exec, exec, s[6:7]
	s_mov_b64 s[4:5], -1
	s_and_b64 vcc, exec, s[10:11]
	s_cbranch_vccz .LBB10_91
.LBB10_93:
	v_cmp_gt_i32_e32 vcc, s33, v2
	s_and_saveexec_b64 s[4:5], vcc
	s_cbranch_execz .LBB10_96
; %bb.94:
	s_cmp_lt_u32 s34, 16
	s_cselect_b32 s7, s34, 16
	s_cselect_b32 s6, 0, 0
	s_add_u32 s8, s7, -1
	s_addc_u32 s6, s6, -1
	s_mul_i32 s7, s8, s13
	s_mul_hi_u32 s9, s8, s12
	s_add_i32 s7, s9, s7
	s_mul_i32 s6, s6, s12
	s_add_i32 s7, s7, s6
	s_mul_i32 s6, s8, s12
	s_lshl_b64 s[6:7], s[6:7], 3
	s_add_u32 s6, s6, s20
	s_addc_u32 s7, s7, s21
	s_add_u32 s6, s6, s14
	s_addc_u32 s7, s7, s15
	;; [unrolled: 2-line block ×3, first 2 shown]
	s_add_u32 s2, s2, s6
	v_xad_u32 v3, v2, -1, s33
	s_addc_u32 s3, s3, s7
	v_lshl_add_u32 v6, v3, 3, v8
	v_ashrrev_i32_e32 v3, 31, v2
	v_lshl_add_u64 v[4:5], v[0:1], 3, s[2:3]
	s_lshl_b64 s[6:7], s[12:13], 3
	v_lshl_add_u64 v[4:5], v[2:3], 3, v[4:5]
	s_sub_u32 s6, 0, s6
	v_lshl_add_u64 v[4:5], s[16:17], 0, v[4:5]
	s_mov_b64 s[2:3], 0
	s_subb_u32 s7, 0, s7
	s_lshl_b32 s8, s33, 3
	s_mov_b32 s9, s33
.LBB10_95:                              ; =>This Inner Loop Header: Depth=1
	ds_read_b64 v[10:11], v6
	s_add_i32 s9, s9, -1
	v_cmp_le_i32_e32 vcc, s9, v2
	v_add_u32_e32 v6, s8, v6
	s_or_b64 s[2:3], vcc, s[2:3]
	s_waitcnt lgkmcnt(0)
	global_store_dwordx2 v[4:5], v[10:11], off
	v_lshl_add_u64 v[4:5], v[4:5], 0, s[6:7]
	s_andn2_b64 exec, exec, s[2:3]
	s_cbranch_execnz .LBB10_95
.LBB10_96:
	s_or_b64 exec, exec, s[4:5]
	s_cbranch_execnz .LBB10_100
.LBB10_97:
	v_cmp_lt_i32_e32 vcc, -1, v2
	s_and_b64 exec, exec, vcc
	s_cbranch_execz .LBB10_100
; %bb.98:
	v_mov_b32_e32 v3, 0
	v_lshl_add_u64 v[0:1], v[0:1], 3, s[0:1]
	v_lshl_add_u32 v4, v2, 3, v8
	v_lshl_add_u64 v[0:1], v[2:3], 3, v[0:1]
	v_add_u32_e32 v2, 1, v2
	s_lshl_b64 s[0:1], s[12:13], 3
	s_lshl_b32 s4, s33, 3
	s_mov_b64 s[2:3], 0
.LBB10_99:                              ; =>This Inner Loop Header: Depth=1
	ds_read_b64 v[6:7], v4
	v_add_u32_e32 v2, -1, v2
	v_cmp_eq_u32_e32 vcc, 0, v2
	v_add_u32_e32 v4, s4, v4
	s_or_b64 s[2:3], vcc, s[2:3]
	s_waitcnt lgkmcnt(0)
	global_store_dwordx2 v[0:1], v[6:7], off
	v_lshl_add_u64 v[0:1], v[0:1], 0, s[0:1]
	s_andn2_b64 exec, exec, s[2:3]
	s_cbranch_execnz .LBB10_99
.LBB10_100:
	s_endpgm
	.section	.rodata,"a",@progbits
	.p2align	6, 0x0
	.amdhsa_kernel _ZL29rocblas_trtri_diagonal_kernelILi16E19rocblas_complex_numIfEPKS1_PS1_Ev13rocblas_fill_17rocblas_diagonal_iT1_lillT2_lilli
		.amdhsa_group_segment_fixed_size 8192
		.amdhsa_private_segment_fixed_size 0
		.amdhsa_kernarg_size 100
		.amdhsa_user_sgpr_count 2
		.amdhsa_user_sgpr_dispatch_ptr 0
		.amdhsa_user_sgpr_queue_ptr 0
		.amdhsa_user_sgpr_kernarg_segment_ptr 1
		.amdhsa_user_sgpr_dispatch_id 0
		.amdhsa_user_sgpr_kernarg_preload_length 0
		.amdhsa_user_sgpr_kernarg_preload_offset 0
		.amdhsa_user_sgpr_private_segment_size 0
		.amdhsa_uses_dynamic_stack 0
		.amdhsa_enable_private_segment 0
		.amdhsa_system_sgpr_workgroup_id_x 1
		.amdhsa_system_sgpr_workgroup_id_y 0
		.amdhsa_system_sgpr_workgroup_id_z 1
		.amdhsa_system_sgpr_workgroup_info 0
		.amdhsa_system_vgpr_workitem_id 0
		.amdhsa_next_free_vgpr 20
		.amdhsa_next_free_sgpr 43
		.amdhsa_accum_offset 20
		.amdhsa_reserve_vcc 1
		.amdhsa_float_round_mode_32 0
		.amdhsa_float_round_mode_16_64 0
		.amdhsa_float_denorm_mode_32 3
		.amdhsa_float_denorm_mode_16_64 3
		.amdhsa_dx10_clamp 1
		.amdhsa_ieee_mode 1
		.amdhsa_fp16_overflow 0
		.amdhsa_tg_split 0
		.amdhsa_exception_fp_ieee_invalid_op 0
		.amdhsa_exception_fp_denorm_src 0
		.amdhsa_exception_fp_ieee_div_zero 0
		.amdhsa_exception_fp_ieee_overflow 0
		.amdhsa_exception_fp_ieee_underflow 0
		.amdhsa_exception_fp_ieee_inexact 0
		.amdhsa_exception_int_div_zero 0
	.end_amdhsa_kernel
	.section	.text._ZL29rocblas_trtri_diagonal_kernelILi16E19rocblas_complex_numIfEPKS1_PS1_Ev13rocblas_fill_17rocblas_diagonal_iT1_lillT2_lilli,"axG",@progbits,_ZL29rocblas_trtri_diagonal_kernelILi16E19rocblas_complex_numIfEPKS1_PS1_Ev13rocblas_fill_17rocblas_diagonal_iT1_lillT2_lilli,comdat
.Lfunc_end10:
	.size	_ZL29rocblas_trtri_diagonal_kernelILi16E19rocblas_complex_numIfEPKS1_PS1_Ev13rocblas_fill_17rocblas_diagonal_iT1_lillT2_lilli, .Lfunc_end10-_ZL29rocblas_trtri_diagonal_kernelILi16E19rocblas_complex_numIfEPKS1_PS1_Ev13rocblas_fill_17rocblas_diagonal_iT1_lillT2_lilli
                                        ; -- End function
	.set _ZL29rocblas_trtri_diagonal_kernelILi16E19rocblas_complex_numIfEPKS1_PS1_Ev13rocblas_fill_17rocblas_diagonal_iT1_lillT2_lilli.num_vgpr, 20
	.set _ZL29rocblas_trtri_diagonal_kernelILi16E19rocblas_complex_numIfEPKS1_PS1_Ev13rocblas_fill_17rocblas_diagonal_iT1_lillT2_lilli.num_agpr, 0
	.set _ZL29rocblas_trtri_diagonal_kernelILi16E19rocblas_complex_numIfEPKS1_PS1_Ev13rocblas_fill_17rocblas_diagonal_iT1_lillT2_lilli.numbered_sgpr, 43
	.set _ZL29rocblas_trtri_diagonal_kernelILi16E19rocblas_complex_numIfEPKS1_PS1_Ev13rocblas_fill_17rocblas_diagonal_iT1_lillT2_lilli.num_named_barrier, 0
	.set _ZL29rocblas_trtri_diagonal_kernelILi16E19rocblas_complex_numIfEPKS1_PS1_Ev13rocblas_fill_17rocblas_diagonal_iT1_lillT2_lilli.private_seg_size, 0
	.set _ZL29rocblas_trtri_diagonal_kernelILi16E19rocblas_complex_numIfEPKS1_PS1_Ev13rocblas_fill_17rocblas_diagonal_iT1_lillT2_lilli.uses_vcc, 1
	.set _ZL29rocblas_trtri_diagonal_kernelILi16E19rocblas_complex_numIfEPKS1_PS1_Ev13rocblas_fill_17rocblas_diagonal_iT1_lillT2_lilli.uses_flat_scratch, 0
	.set _ZL29rocblas_trtri_diagonal_kernelILi16E19rocblas_complex_numIfEPKS1_PS1_Ev13rocblas_fill_17rocblas_diagonal_iT1_lillT2_lilli.has_dyn_sized_stack, 0
	.set _ZL29rocblas_trtri_diagonal_kernelILi16E19rocblas_complex_numIfEPKS1_PS1_Ev13rocblas_fill_17rocblas_diagonal_iT1_lillT2_lilli.has_recursion, 0
	.set _ZL29rocblas_trtri_diagonal_kernelILi16E19rocblas_complex_numIfEPKS1_PS1_Ev13rocblas_fill_17rocblas_diagonal_iT1_lillT2_lilli.has_indirect_call, 0
	.section	.AMDGPU.csdata,"",@progbits
; Kernel info:
; codeLenInByte = 3620
; TotalNumSgprs: 49
; NumVgprs: 20
; NumAgprs: 0
; TotalNumVgprs: 20
; ScratchSize: 0
; MemoryBound: 0
; FloatMode: 240
; IeeeMode: 1
; LDSByteSize: 8192 bytes/workgroup (compile time only)
; SGPRBlocks: 6
; VGPRBlocks: 2
; NumSGPRsForWavesPerEU: 49
; NumVGPRsForWavesPerEU: 20
; AccumOffset: 20
; Occupancy: 8
; WaveLimiterHint : 0
; COMPUTE_PGM_RSRC2:SCRATCH_EN: 0
; COMPUTE_PGM_RSRC2:USER_SGPR: 2
; COMPUTE_PGM_RSRC2:TRAP_HANDLER: 0
; COMPUTE_PGM_RSRC2:TGID_X_EN: 1
; COMPUTE_PGM_RSRC2:TGID_Y_EN: 0
; COMPUTE_PGM_RSRC2:TGID_Z_EN: 1
; COMPUTE_PGM_RSRC2:TIDIG_COMP_CNT: 0
; COMPUTE_PGM_RSRC3_GFX90A:ACCUM_OFFSET: 4
; COMPUTE_PGM_RSRC3_GFX90A:TG_SPLIT: 0
	.section	.text._ZL30rocblas_trtri_remainder_kernelILi16E19rocblas_complex_numIfEPKS1_PS1_Ev13rocblas_fill_17rocblas_diagonal_iT1_lillT2_lilli,"axG",@progbits,_ZL30rocblas_trtri_remainder_kernelILi16E19rocblas_complex_numIfEPKS1_PS1_Ev13rocblas_fill_17rocblas_diagonal_iT1_lillT2_lilli,comdat
	.globl	_ZL30rocblas_trtri_remainder_kernelILi16E19rocblas_complex_numIfEPKS1_PS1_Ev13rocblas_fill_17rocblas_diagonal_iT1_lillT2_lilli ; -- Begin function _ZL30rocblas_trtri_remainder_kernelILi16E19rocblas_complex_numIfEPKS1_PS1_Ev13rocblas_fill_17rocblas_diagonal_iT1_lillT2_lilli
	.p2align	8
	.type	_ZL30rocblas_trtri_remainder_kernelILi16E19rocblas_complex_numIfEPKS1_PS1_Ev13rocblas_fill_17rocblas_diagonal_iT1_lillT2_lilli,@function
_ZL30rocblas_trtri_remainder_kernelILi16E19rocblas_complex_numIfEPKS1_PS1_Ev13rocblas_fill_17rocblas_diagonal_iT1_lillT2_lilli: ; @_ZL30rocblas_trtri_remainder_kernelILi16E19rocblas_complex_numIfEPKS1_PS1_Ev13rocblas_fill_17rocblas_diagonal_iT1_lillT2_lilli
; %bb.0:
	s_load_dwordx4 s[16:19], s[0:1], 0x0
	s_waitcnt lgkmcnt(0)
	s_cmp_lt_i32 s18, 1
	s_cbranch_scc1 .LBB11_43
; %bb.1:
	s_load_dwordx8 s[8:15], s[0:1], 0x28
	v_cmp_le_u32_e64 s[4:5], s18, v0
	v_cmp_gt_u32_e64 s[6:7], s18, v0
	s_and_saveexec_b64 s[24:25], s[6:7]
	s_cbranch_execz .LBB11_9
; %bb.2:
	s_load_dwordx4 s[20:23], s[0:1], 0x10
	s_load_dword s26, s[0:1], 0x20
	s_waitcnt lgkmcnt(0)
	s_mul_i32 s9, s9, s3
	s_mul_hi_u32 s19, s8, s3
	s_add_i32 s9, s19, s9
	s_mul_i32 s11, s11, s2
	s_mul_hi_u32 s19, s10, s2
	s_add_i32 s11, s19, s11
	s_mul_i32 s8, s8, s3
	s_mul_i32 s10, s10, s2
	s_cmpk_lg_i32 s16, 0x7a
	s_mov_b64 s[28:29], -1
	s_cbranch_scc0 .LBB11_6
; %bb.3:
	s_add_i32 s33, s18, -1
	s_ashr_i32 s27, s26, 31
	s_lshl_b32 s19, s18, 3
	s_lshl_b64 s[28:29], s[10:11], 3
	s_lshl_b64 s[30:31], s[8:9], 3
	s_add_u32 s30, s28, s30
	s_addc_u32 s31, s29, s31
	s_mul_i32 s28, s27, s33
	s_mul_hi_u32 s29, s26, s33
	s_add_i32 s29, s29, s28
	s_mul_i32 s28, s26, s33
	s_lshl_b64 s[28:29], s[28:29], 3
	s_add_u32 s30, s30, s28
	s_addc_u32 s31, s31, s29
	s_lshl_b64 s[28:29], s[22:23], 3
	s_add_u32 s28, s30, s28
	s_addc_u32 s29, s31, s29
	s_add_u32 s28, s20, s28
	s_addc_u32 s29, s21, s29
	s_lshl_b64 s[30:31], s[26:27], 3
	v_sub_u32_e32 v1, s33, v0
	v_lshlrev_b32_e32 v2, 3, v0
	v_mov_b32_e32 v3, 0
	s_sub_u32 s30, 0, s30
	v_lshlrev_b32_e32 v1, 3, v1
	v_lshl_add_u64 v[2:3], s[28:29], 0, v[2:3]
	s_mov_b64 s[28:29], 0
	s_subb_u32 s31, 0, s31
	s_mov_b32 s27, s18
.LBB11_4:                               ; =>This Inner Loop Header: Depth=1
	global_load_dwordx2 v[4:5], v[2:3], off
	s_add_i32 s27, s27, -1
	v_cmp_le_u32_e32 vcc, s27, v0
	v_lshl_add_u64 v[2:3], v[2:3], 0, s[30:31]
	s_or_b64 s[28:29], vcc, s[28:29]
	s_waitcnt vmcnt(0)
	ds_write_b64 v1, v[4:5]
	v_add_u32_e32 v1, s19, v1
	s_andn2_b64 exec, exec, s[28:29]
	s_cbranch_execnz .LBB11_4
; %bb.5:
	s_or_b64 exec, exec, s[28:29]
	s_mov_b64 s[28:29], 0
.LBB11_6:
	s_and_b64 vcc, exec, s[28:29]
	s_cbranch_vccz .LBB11_9
; %bb.7:
	s_lshl_b64 s[8:9], s[8:9], 3
	s_add_u32 s19, s20, s8
	s_addc_u32 s20, s21, s9
	s_lshl_b64 s[8:9], s[22:23], 3
	s_add_u32 s19, s19, s8
	s_addc_u32 s20, s20, s9
	;; [unrolled: 3-line block ×3, first 2 shown]
	s_ashr_i32 s27, s26, 31
	v_lshlrev_b32_e32 v2, 3, v0
	v_mov_b32_e32 v3, 0
	v_lshl_add_u64 v[4:5], s[8:9], 0, v[2:3]
	v_add_u32_e32 v1, 1, v0
	s_lshl_b32 s19, s18, 3
	s_lshl_b64 s[8:9], s[26:27], 3
	s_mov_b64 s[10:11], 0
.LBB11_8:                               ; =>This Inner Loop Header: Depth=1
	global_load_dwordx2 v[6:7], v[4:5], off
	v_add_u32_e32 v1, -1, v1
	v_cmp_eq_u32_e32 vcc, 0, v1
	v_lshl_add_u64 v[4:5], v[4:5], 0, s[8:9]
	s_or_b64 s[10:11], vcc, s[10:11]
	s_waitcnt vmcnt(0)
	ds_write_b64 v2, v[6:7]
	v_add_u32_e32 v2, s19, v2
	s_andn2_b64 exec, exec, s[10:11]
	s_cbranch_execnz .LBB11_8
.LBB11_9:
	s_or_b64 exec, exec, s[24:25]
	s_waitcnt lgkmcnt(0)
	s_barrier
                                        ; implicit-def: $vgpr2
	s_and_saveexec_b64 s[8:9], s[4:5]
	s_xor_b64 s[4:5], exec, s[8:9]
; %bb.10:
	v_mad_u64_u32 v[2:3], s[8:9], v0, s18, v[0:1]
; %bb.11:
	s_andn2_saveexec_b64 s[8:9], s[4:5]
	s_cbranch_execz .LBB11_24
; %bb.12:
	v_mad_u64_u32 v[2:3], s[4:5], v0, s18, v[0:1]
	s_cmpk_lg_i32 s17, 0x84
	v_lshlrev_b32_e32 v1, 3, v2
	s_mov_b64 s[4:5], -1
	s_cbranch_scc0 .LBB11_22
; %bb.13:
	ds_read_b64 v[4:5], v1
	s_waitcnt lgkmcnt(0)
	v_cmp_neq_f32_e32 vcc, 0, v4
	v_cmp_neq_f32_e64 s[4:5], 0, v5
	s_or_b64 s[4:5], vcc, s[4:5]
	s_and_saveexec_b64 s[10:11], s[4:5]
	s_xor_b64 s[4:5], exec, s[10:11]
	s_cbranch_execz .LBB11_19
; %bb.14:
	v_cmp_ngt_f32_e64 s[10:11], |v4|, |v5|
                                        ; implicit-def: $vgpr6_vgpr7
	s_and_saveexec_b64 s[20:21], s[10:11]
	s_xor_b64 s[10:11], exec, s[20:21]
	s_cbranch_execz .LBB11_16
; %bb.15:
	v_div_scale_f32 v3, s[20:21], v5, v5, v4
	v_rcp_f32_e32 v6, v3
	v_div_scale_f32 v7, vcc, v4, v5, v4
	v_fma_f32 v8, -v3, v6, 1.0
	v_fmac_f32_e32 v6, v8, v6
	v_mul_f32_e32 v8, v7, v6
	v_fma_f32 v9, -v3, v8, v7
	v_fmac_f32_e32 v8, v9, v6
	v_fma_f32 v3, -v3, v8, v7
	v_div_fmas_f32 v3, v3, v6, v8
	v_div_fixup_f32 v3, v3, v5, v4
	v_fmac_f32_e32 v5, v4, v3
	v_div_scale_f32 v4, s[20:21], v5, v5, 1.0
	v_rcp_f32_e32 v6, v4
	s_nop 0
	v_fma_f32 v7, -v4, v6, 1.0
	v_fmac_f32_e32 v6, v7, v6
	v_div_scale_f32 v7, vcc, 1.0, v5, 1.0
	v_mul_f32_e32 v8, v7, v6
	v_fma_f32 v9, -v4, v8, v7
	v_fmac_f32_e32 v8, v9, v6
	v_fma_f32 v4, -v4, v8, v7
	v_div_fmas_f32 v4, v4, v6, v8
	v_div_fixup_f32 v4, v4, v5, 1.0
	v_mul_f32_e32 v6, v3, v4
	v_xor_b32_e32 v7, 0x80000000, v4
                                        ; implicit-def: $vgpr4_vgpr5
.LBB11_16:
	s_andn2_saveexec_b64 s[10:11], s[10:11]
	s_cbranch_execz .LBB11_18
; %bb.17:
	v_div_scale_f32 v3, s[20:21], v4, v4, v5
	v_rcp_f32_e32 v6, v3
	v_div_scale_f32 v7, vcc, v5, v4, v5
	v_fma_f32 v8, -v3, v6, 1.0
	v_fmac_f32_e32 v6, v8, v6
	v_mul_f32_e32 v8, v7, v6
	v_fma_f32 v9, -v3, v8, v7
	v_fmac_f32_e32 v8, v9, v6
	v_fma_f32 v3, -v3, v8, v7
	v_div_fmas_f32 v3, v3, v6, v8
	v_div_fixup_f32 v3, v3, v4, v5
	v_fmac_f32_e32 v4, v5, v3
	v_div_scale_f32 v5, s[20:21], v4, v4, 1.0
	v_rcp_f32_e32 v6, v5
	s_nop 0
	v_fma_f32 v7, -v5, v6, 1.0
	v_fmac_f32_e32 v6, v7, v6
	v_div_scale_f32 v7, vcc, 1.0, v4, 1.0
	v_mul_f32_e32 v8, v7, v6
	v_fma_f32 v9, -v5, v8, v7
	v_fmac_f32_e32 v8, v9, v6
	v_fma_f32 v5, -v5, v8, v7
	v_div_fmas_f32 v5, v5, v6, v8
	v_div_fixup_f32 v6, v5, v4, 1.0
	v_mul_f32_e64 v7, v3, -v6
.LBB11_18:
	s_or_b64 exec, exec, s[10:11]
	ds_write_b64 v1, v[6:7]
.LBB11_19:
	s_andn2_saveexec_b64 s[4:5], s[4:5]
; %bb.20:
	v_mov_b32_e32 v4, 1.0
	v_mov_b32_e32 v5, 0
	ds_write_b64 v1, v[4:5]
; %bb.21:
	s_or_b64 exec, exec, s[4:5]
	s_mov_b64 s[4:5], 0
.LBB11_22:
	s_andn2_b64 vcc, exec, s[4:5]
	s_cbranch_vccnz .LBB11_24
; %bb.23:
	v_mov_b32_e32 v4, 1.0
	v_mov_b32_e32 v5, 0
	ds_write_b64 v1, v[4:5]
.LBB11_24:
	s_or_b64 exec, exec, s[8:9]
	v_lshlrev_b32_e32 v1, 3, v0
	s_lshl_b32 s10, s18, 3
	v_lshlrev_b32_e32 v3, 3, v2
	v_add_u32_e32 v4, s10, v1
	s_mov_b32 s8, 8
	s_add_i32 s9, s10, 8
	s_mov_b32 s11, 0
	s_waitcnt lgkmcnt(0)
	s_barrier
	s_branch .LBB11_26
.LBB11_25:                              ;   in Loop: Header=BB11_26 Depth=1
	s_add_i32 s8, s8, s9
	s_cmp_eq_u32 s11, s18
	v_add_u32_e32 v4, s10, v4
	s_barrier
	s_cbranch_scc1 .LBB11_35
.LBB11_26:                              ; =>This Loop Header: Depth=1
                                        ;     Child Loop BB11_31 Depth 2
	v_cmp_lt_u32_e32 vcc, s11, v0
	v_mov_b32_e32 v5, 0
	s_mul_i32 s17, s11, s18
	v_mov_b32_e32 v2, 0
	s_and_saveexec_b64 s[4:5], vcc
	s_cbranch_execz .LBB11_28
; %bb.27:                               ;   in Loop: Header=BB11_26 Depth=1
	s_lshl_b32 s19, s17, 3
	s_lshl_b32 s20, s11, 3
	v_add_u32_e32 v2, s19, v1
	s_add_i32 s19, s20, s19
	v_mov_b32_e32 v5, s19
	ds_read_b64 v[6:7], v2
	ds_read_b64 v[8:9], v5
	s_waitcnt lgkmcnt(0)
	v_mul_f32_e32 v2, v9, v7
	v_mul_f32_e32 v7, v8, v7
	v_fma_f32 v2, v8, v6, -v2
	v_fmac_f32_e32 v7, v9, v6
	v_add_f32_e32 v5, 0, v2
	v_add_f32_e32 v2, 0, v7
.LBB11_28:                              ;   in Loop: Header=BB11_26 Depth=1
	s_or_b64 exec, exec, s[4:5]
	s_add_i32 s11, s11, 1
	s_cmp_ge_i32 s11, s18
	s_barrier
	s_cbranch_scc1 .LBB11_25
; %bb.29:                               ;   in Loop: Header=BB11_26 Depth=1
	v_lshl_add_u32 v6, s17, 3, v1
	s_mov_b32 s17, s8
	v_mov_b32_e32 v7, v4
	s_mov_b32 s19, s11
	s_branch .LBB11_31
.LBB11_30:                              ;   in Loop: Header=BB11_31 Depth=2
	s_or_b64 exec, exec, s[4:5]
	s_add_i32 s19, s19, 1
	s_add_i32 s17, s17, 8
	s_cmp_eq_u32 s18, s19
	v_add_u32_e32 v7, s10, v7
	s_barrier
	s_cbranch_scc1 .LBB11_25
.LBB11_31:                              ;   Parent Loop BB11_26 Depth=1
                                        ; =>  This Inner Loop Header: Depth=2
	v_cmp_eq_u32_e32 vcc, s19, v0
	s_and_saveexec_b64 s[4:5], vcc
	s_cbranch_execz .LBB11_33
; %bb.32:                               ;   in Loop: Header=BB11_31 Depth=2
	ds_read_b64 v[8:9], v3
	v_sub_f32_e32 v10, 0, v5
	s_waitcnt lgkmcnt(0)
	v_pk_mul_f32 v[12:13], v[2:3], v[8:9] op_sel:[0,1] op_sel_hi:[0,0]
	v_pk_fma_f32 v[14:15], v[10:11], v[8:9], v[12:13]
	v_pk_fma_f32 v[8:9], v[10:11], v[8:9], v[12:13] op_sel_hi:[0,1,1] neg_lo:[0,0,1] neg_hi:[0,0,1]
	v_mov_b32_e32 v15, v9
	ds_write_b64 v6, v[14:15]
.LBB11_33:                              ;   in Loop: Header=BB11_31 Depth=2
	s_or_b64 exec, exec, s[4:5]
	v_cmp_lt_u32_e32 vcc, s19, v0
	s_waitcnt lgkmcnt(0)
	s_barrier
	s_and_saveexec_b64 s[4:5], vcc
	s_cbranch_execz .LBB11_30
; %bb.34:                               ;   in Loop: Header=BB11_31 Depth=2
	v_mov_b32_e32 v10, s17
	ds_read_b64 v[8:9], v7
	ds_read_b64 v[10:11], v10
	s_waitcnt lgkmcnt(0)
	v_mul_f32_e32 v12, v11, v9
	v_mul_f32_e32 v9, v10, v9
	v_fma_f32 v10, v10, v8, -v12
	v_fmac_f32_e32 v9, v11, v8
	v_add_f32_e32 v5, v5, v10
	v_add_f32_e32 v2, v2, v9
	s_branch .LBB11_30
.LBB11_35:
	s_and_saveexec_b64 s[4:5], s[6:7]
	s_cbranch_execz .LBB11_43
; %bb.36:
	s_load_dwordx4 s[20:23], s[0:1], 0x50
	s_load_dword s4, s[0:1], 0x48
	s_mov_b64 s[6:7], -1
	s_waitcnt lgkmcnt(0)
	s_mul_i32 s1, s21, s3
	s_mul_hi_u32 s5, s20, s3
	s_mul_i32 s0, s20, s3
	s_mul_i32 s3, s23, s2
	s_add_i32 s1, s5, s1
	s_mul_hi_u32 s5, s22, s2
	s_add_i32 s3, s5, s3
	s_mul_i32 s2, s22, s2
	s_cmpk_lg_i32 s16, 0x7a
	s_cbranch_scc0 .LBB11_40
; %bb.37:
	s_add_i32 s11, s18, -1
	s_ashr_i32 s5, s4, 31
	s_lshl_b64 s[6:7], s[2:3], 3
	s_lshl_b64 s[8:9], s[0:1], 3
	s_add_u32 s8, s6, s8
	s_addc_u32 s9, s7, s9
	s_mul_i32 s6, s5, s11
	s_mul_hi_u32 s7, s4, s11
	s_add_i32 s7, s7, s6
	s_mul_i32 s6, s4, s11
	s_lshl_b64 s[6:7], s[6:7], 3
	s_add_u32 s8, s8, s6
	s_addc_u32 s9, s9, s7
	s_lshl_b64 s[6:7], s[14:15], 3
	s_add_u32 s6, s8, s6
	s_addc_u32 s7, s9, s7
	s_add_u32 s6, s12, s6
	v_sub_u32_e32 v2, s11, v0
	s_addc_u32 s7, s13, s7
	s_lshl_b64 s[8:9], s[4:5], 3
	v_lshlrev_b32_e32 v4, 3, v2
	v_lshlrev_b32_e32 v2, 3, v0
	v_mov_b32_e32 v3, 0
	s_sub_u32 s8, 0, s8
	v_lshl_add_u64 v[2:3], s[6:7], 0, v[2:3]
	s_mov_b64 s[6:7], 0
	s_subb_u32 s9, 0, s9
.LBB11_38:                              ; =>This Inner Loop Header: Depth=1
	ds_read_b64 v[6:7], v4
	s_add_i32 s18, s18, -1
	v_cmp_le_u32_e32 vcc, s18, v0
	v_add_u32_e32 v4, s10, v4
	s_or_b64 s[6:7], vcc, s[6:7]
	s_waitcnt lgkmcnt(0)
	global_store_dwordx2 v[2:3], v[6:7], off
	v_lshl_add_u64 v[2:3], v[2:3], 0, s[8:9]
	s_andn2_b64 exec, exec, s[6:7]
	s_cbranch_execnz .LBB11_38
; %bb.39:
	s_or_b64 exec, exec, s[6:7]
	s_mov_b64 s[6:7], 0
.LBB11_40:
	s_and_b64 vcc, exec, s[6:7]
	s_cbranch_vccz .LBB11_43
; %bb.41:
	s_lshl_b64 s[0:1], s[0:1], 3
	s_add_u32 s5, s12, s0
	s_addc_u32 s6, s13, s1
	s_lshl_b64 s[0:1], s[14:15], 3
	s_add_u32 s5, s5, s0
	s_addc_u32 s6, s6, s1
	;; [unrolled: 3-line block ×3, first 2 shown]
	s_ashr_i32 s5, s4, 31
	v_lshlrev_b32_e32 v2, 3, v0
	v_mov_b32_e32 v3, 0
	v_lshl_add_u64 v[2:3], s[0:1], 0, v[2:3]
	v_add_u32_e32 v0, 1, v0
	s_lshl_b64 s[0:1], s[4:5], 3
	s_mov_b64 s[2:3], 0
.LBB11_42:                              ; =>This Inner Loop Header: Depth=1
	ds_read_b64 v[4:5], v1
	v_add_u32_e32 v0, -1, v0
	v_cmp_eq_u32_e32 vcc, 0, v0
	v_add_u32_e32 v1, s10, v1
	s_or_b64 s[2:3], vcc, s[2:3]
	s_waitcnt lgkmcnt(0)
	global_store_dwordx2 v[2:3], v[4:5], off
	v_lshl_add_u64 v[2:3], v[2:3], 0, s[0:1]
	s_andn2_b64 exec, exec, s[2:3]
	s_cbranch_execnz .LBB11_42
.LBB11_43:
	s_endpgm
	.section	.rodata,"a",@progbits
	.p2align	6, 0x0
	.amdhsa_kernel _ZL30rocblas_trtri_remainder_kernelILi16E19rocblas_complex_numIfEPKS1_PS1_Ev13rocblas_fill_17rocblas_diagonal_iT1_lillT2_lilli
		.amdhsa_group_segment_fixed_size 8192
		.amdhsa_private_segment_fixed_size 0
		.amdhsa_kernarg_size 100
		.amdhsa_user_sgpr_count 2
		.amdhsa_user_sgpr_dispatch_ptr 0
		.amdhsa_user_sgpr_queue_ptr 0
		.amdhsa_user_sgpr_kernarg_segment_ptr 1
		.amdhsa_user_sgpr_dispatch_id 0
		.amdhsa_user_sgpr_kernarg_preload_length 0
		.amdhsa_user_sgpr_kernarg_preload_offset 0
		.amdhsa_user_sgpr_private_segment_size 0
		.amdhsa_uses_dynamic_stack 0
		.amdhsa_enable_private_segment 0
		.amdhsa_system_sgpr_workgroup_id_x 1
		.amdhsa_system_sgpr_workgroup_id_y 0
		.amdhsa_system_sgpr_workgroup_id_z 1
		.amdhsa_system_sgpr_workgroup_info 0
		.amdhsa_system_vgpr_workitem_id 0
		.amdhsa_next_free_vgpr 16
		.amdhsa_next_free_sgpr 34
		.amdhsa_accum_offset 16
		.amdhsa_reserve_vcc 1
		.amdhsa_float_round_mode_32 0
		.amdhsa_float_round_mode_16_64 0
		.amdhsa_float_denorm_mode_32 3
		.amdhsa_float_denorm_mode_16_64 3
		.amdhsa_dx10_clamp 1
		.amdhsa_ieee_mode 1
		.amdhsa_fp16_overflow 0
		.amdhsa_tg_split 0
		.amdhsa_exception_fp_ieee_invalid_op 0
		.amdhsa_exception_fp_denorm_src 0
		.amdhsa_exception_fp_ieee_div_zero 0
		.amdhsa_exception_fp_ieee_overflow 0
		.amdhsa_exception_fp_ieee_underflow 0
		.amdhsa_exception_fp_ieee_inexact 0
		.amdhsa_exception_int_div_zero 0
	.end_amdhsa_kernel
	.section	.text._ZL30rocblas_trtri_remainder_kernelILi16E19rocblas_complex_numIfEPKS1_PS1_Ev13rocblas_fill_17rocblas_diagonal_iT1_lillT2_lilli,"axG",@progbits,_ZL30rocblas_trtri_remainder_kernelILi16E19rocblas_complex_numIfEPKS1_PS1_Ev13rocblas_fill_17rocblas_diagonal_iT1_lillT2_lilli,comdat
.Lfunc_end11:
	.size	_ZL30rocblas_trtri_remainder_kernelILi16E19rocblas_complex_numIfEPKS1_PS1_Ev13rocblas_fill_17rocblas_diagonal_iT1_lillT2_lilli, .Lfunc_end11-_ZL30rocblas_trtri_remainder_kernelILi16E19rocblas_complex_numIfEPKS1_PS1_Ev13rocblas_fill_17rocblas_diagonal_iT1_lillT2_lilli
                                        ; -- End function
	.set _ZL30rocblas_trtri_remainder_kernelILi16E19rocblas_complex_numIfEPKS1_PS1_Ev13rocblas_fill_17rocblas_diagonal_iT1_lillT2_lilli.num_vgpr, 16
	.set _ZL30rocblas_trtri_remainder_kernelILi16E19rocblas_complex_numIfEPKS1_PS1_Ev13rocblas_fill_17rocblas_diagonal_iT1_lillT2_lilli.num_agpr, 0
	.set _ZL30rocblas_trtri_remainder_kernelILi16E19rocblas_complex_numIfEPKS1_PS1_Ev13rocblas_fill_17rocblas_diagonal_iT1_lillT2_lilli.numbered_sgpr, 34
	.set _ZL30rocblas_trtri_remainder_kernelILi16E19rocblas_complex_numIfEPKS1_PS1_Ev13rocblas_fill_17rocblas_diagonal_iT1_lillT2_lilli.num_named_barrier, 0
	.set _ZL30rocblas_trtri_remainder_kernelILi16E19rocblas_complex_numIfEPKS1_PS1_Ev13rocblas_fill_17rocblas_diagonal_iT1_lillT2_lilli.private_seg_size, 0
	.set _ZL30rocblas_trtri_remainder_kernelILi16E19rocblas_complex_numIfEPKS1_PS1_Ev13rocblas_fill_17rocblas_diagonal_iT1_lillT2_lilli.uses_vcc, 1
	.set _ZL30rocblas_trtri_remainder_kernelILi16E19rocblas_complex_numIfEPKS1_PS1_Ev13rocblas_fill_17rocblas_diagonal_iT1_lillT2_lilli.uses_flat_scratch, 0
	.set _ZL30rocblas_trtri_remainder_kernelILi16E19rocblas_complex_numIfEPKS1_PS1_Ev13rocblas_fill_17rocblas_diagonal_iT1_lillT2_lilli.has_dyn_sized_stack, 0
	.set _ZL30rocblas_trtri_remainder_kernelILi16E19rocblas_complex_numIfEPKS1_PS1_Ev13rocblas_fill_17rocblas_diagonal_iT1_lillT2_lilli.has_recursion, 0
	.set _ZL30rocblas_trtri_remainder_kernelILi16E19rocblas_complex_numIfEPKS1_PS1_Ev13rocblas_fill_17rocblas_diagonal_iT1_lillT2_lilli.has_indirect_call, 0
	.section	.AMDGPU.csdata,"",@progbits
; Kernel info:
; codeLenInByte = 1692
; TotalNumSgprs: 40
; NumVgprs: 16
; NumAgprs: 0
; TotalNumVgprs: 16
; ScratchSize: 0
; MemoryBound: 0
; FloatMode: 240
; IeeeMode: 1
; LDSByteSize: 8192 bytes/workgroup (compile time only)
; SGPRBlocks: 4
; VGPRBlocks: 1
; NumSGPRsForWavesPerEU: 40
; NumVGPRsForWavesPerEU: 16
; AccumOffset: 16
; Occupancy: 8
; WaveLimiterHint : 0
; COMPUTE_PGM_RSRC2:SCRATCH_EN: 0
; COMPUTE_PGM_RSRC2:USER_SGPR: 2
; COMPUTE_PGM_RSRC2:TRAP_HANDLER: 0
; COMPUTE_PGM_RSRC2:TGID_X_EN: 1
; COMPUTE_PGM_RSRC2:TGID_Y_EN: 0
; COMPUTE_PGM_RSRC2:TGID_Z_EN: 1
; COMPUTE_PGM_RSRC2:TIDIG_COMP_CNT: 0
; COMPUTE_PGM_RSRC3_GFX90A:ACCUM_OFFSET: 3
; COMPUTE_PGM_RSRC3_GFX90A:TG_SPLIT: 0
	.section	.text._ZL18rocblas_trtri_fillILi128E19rocblas_complex_numIdEPS1_EvP15_rocblas_handle13rocblas_fill_ililT1_llii,"axG",@progbits,_ZL18rocblas_trtri_fillILi128E19rocblas_complex_numIdEPS1_EvP15_rocblas_handle13rocblas_fill_ililT1_llii,comdat
	.globl	_ZL18rocblas_trtri_fillILi128E19rocblas_complex_numIdEPS1_EvP15_rocblas_handle13rocblas_fill_ililT1_llii ; -- Begin function _ZL18rocblas_trtri_fillILi128E19rocblas_complex_numIdEPS1_EvP15_rocblas_handle13rocblas_fill_ililT1_llii
	.p2align	8
	.type	_ZL18rocblas_trtri_fillILi128E19rocblas_complex_numIdEPS1_EvP15_rocblas_handle13rocblas_fill_ililT1_llii,@function
_ZL18rocblas_trtri_fillILi128E19rocblas_complex_numIdEPS1_EvP15_rocblas_handle13rocblas_fill_ililT1_llii: ; @_ZL18rocblas_trtri_fillILi128E19rocblas_complex_numIdEPS1_EvP15_rocblas_handle13rocblas_fill_ililT1_llii
; %bb.0:
	s_mov_b32 s4, s2
	s_load_dword s2, s[0:1], 0x40
	s_load_dwordx2 s[12:13], s[0:1], 0x10
	s_waitcnt lgkmcnt(0)
	s_ashr_i32 s5, s2, 31
	s_mul_hi_u32 s6, s12, s2
	s_mul_i32 s5, s12, s5
	s_add_i32 s5, s6, s5
	s_mul_i32 s6, s13, s2
	s_add_i32 s15, s5, s6
	s_mov_b32 s5, 0
	s_lshl_b64 s[4:5], s[4:5], 7
	s_mul_i32 s14, s12, s2
	v_or_b32_e32 v0, s4, v0
	v_mov_b32_e32 v1, s5
	v_cmp_gt_u64_e32 vcc, s[14:15], v[0:1]
	s_and_saveexec_b64 s[4:5], vcc
	s_cbranch_execz .LBB12_16
; %bb.1:
	v_cvt_f32_u32_e32 v5, s12
	v_cvt_f32_u32_e32 v6, s13
	s_load_dword s16, s[0:1], 0x18
	s_load_dwordx8 s[4:11], s[0:1], 0x20
	s_load_dwordx2 s[18:19], s[0:1], 0x8
	v_mov_b32_e32 v4, 0
	s_mov_b32 s20, 0
	v_fmac_f32_e32 v5, 0x4f800000, v6
	s_waitcnt lgkmcnt(0)
	s_mul_i32 s2, s11, s3
	s_mul_hi_u32 s11, s10, s3
	v_rcp_f32_e32 v5, v5
	v_cvt_f32_u32_e32 v6, s12
	s_add_i32 s11, s11, s2
	s_mul_i32 s10, s10, s3
	s_ashr_i32 s17, s16, 31
	s_lshl_b64 s[2:3], s[10:11], 4
	s_add_u32 s6, s6, s2
	s_addc_u32 s7, s7, s3
	s_lshl_b64 s[2:3], s[8:9], 4
	v_mul_f32_e32 v5, 0x5f7ffffc, v5
	v_rcp_iflag_f32_e32 v6, v6
	s_add_u32 s2, s6, s2
	v_mul_f32_e32 v7, 0x2f800000, v5
	s_addc_u32 s3, s7, s3
	s_add_i32 s6, s19, -2
	s_load_dword s8, s[0:1], 0x48
	s_load_dword s9, s[0:1], 0x54
	v_trunc_f32_e32 v7, v7
	v_cvt_f64_i32_e32 v[2:3], s6
	s_add_i32 s6, s19, -1
	v_fmac_f32_e32 v5, 0xcf800000, v7
	s_mul_hi_i32 s7, s6, s19
	s_mul_i32 s6, s6, s19
	v_cvt_u32_f32_e32 v15, v5
	v_mul_f32_e32 v5, 0x4f7ffffe, v6
	s_ashr_i32 s24, s19, 31
	s_lshl_b64 s[0:1], s[6:7], 2
	v_cvt_u32_f32_e32 v16, v7
	v_cvt_u32_f32_e32 v17, v5
	s_mov_b32 s25, s19
	s_add_u32 s19, s0, -7
	s_addc_u32 s26, s1, -1
	s_waitcnt lgkmcnt(0)
	s_and_b32 s0, s9, 0xffff
	s_lshr_b64 s[6:7], s[6:7], 1
	s_mul_hi_u32 s9, s0, s8
	s_mul_i32 s8, s0, s8
	s_mov_b64 s[10:11], 0
	s_brev_b32 s21, 8
	v_mov_b32_e32 v14, 0x260
	s_movk_i32 s27, 0xffe0
	v_mov_b32_e32 v18, 0x100
	v_mov_b32_e32 v19, 0xffffff80
	;; [unrolled: 1-line block ×4, first 2 shown]
	s_branch .LBB12_3
.LBB12_2:                               ;   in Loop: Header=BB12_3 Depth=1
	v_lshl_add_u64 v[0:1], v[0:1], 0, s[8:9]
	v_cmp_le_u64_e32 vcc, s[14:15], v[0:1]
	s_or_b64 s[10:11], vcc, s[10:11]
	s_andn2_b64 exec, exec, s[10:11]
	s_cbranch_execz .LBB12_16
.LBB12_3:                               ; =>This Inner Loop Header: Depth=1
	v_or_b32_e32 v5, s13, v1
	v_cmp_ne_u64_e32 vcc, 0, v[4:5]
                                        ; implicit-def: $vgpr8_vgpr9
	s_and_saveexec_b64 s[0:1], vcc
	s_xor_b64 s[22:23], exec, s[0:1]
	s_cbranch_execz .LBB12_5
; %bb.4:                                ;   in Loop: Header=BB12_3 Depth=1
	s_sub_u32 s28, 0, s12
	v_readfirstlane_b32 s0, v15
	v_readfirstlane_b32 s31, v16
	s_subb_u32 s29, 0, s13
	s_mul_hi_u32 s30, s28, s0
	s_mul_i32 s33, s28, s31
	s_mul_i32 s1, s29, s0
	s_add_i32 s30, s30, s33
	s_add_i32 s30, s30, s1
	s_mul_i32 s34, s28, s0
	s_mul_i32 s33, s0, s30
	s_mul_hi_u32 s35, s0, s34
	s_mul_hi_u32 s1, s0, s30
	s_add_u32 s33, s35, s33
	s_addc_u32 s1, 0, s1
	s_mul_hi_u32 s36, s31, s34
	s_mul_i32 s34, s31, s34
	s_add_u32 s33, s33, s34
	s_mul_hi_u32 s35, s31, s30
	s_addc_u32 s1, s1, s36
	s_addc_u32 s33, s35, 0
	s_mul_i32 s30, s31, s30
	s_add_u32 s1, s1, s30
	s_addc_u32 s30, 0, s33
	s_add_u32 s33, s0, s1
	s_cselect_b64 s[0:1], -1, 0
	s_cmp_lg_u64 s[0:1], 0
	s_addc_u32 s30, s31, s30
	s_mul_i32 s0, s28, s30
	s_mul_hi_u32 s1, s28, s33
	s_add_i32 s0, s1, s0
	s_mul_i32 s29, s29, s33
	s_add_i32 s0, s0, s29
	s_mul_i32 s28, s28, s33
	s_mul_hi_u32 s29, s30, s28
	s_mul_i32 s31, s30, s28
	s_mul_i32 s35, s33, s0
	s_mul_hi_u32 s28, s33, s28
	s_mul_hi_u32 s34, s33, s0
	s_add_u32 s28, s28, s35
	s_addc_u32 s34, 0, s34
	s_add_u32 s28, s28, s31
	s_mul_hi_u32 s1, s30, s0
	s_addc_u32 s28, s34, s29
	s_addc_u32 s1, s1, 0
	s_mul_i32 s0, s30, s0
	s_add_u32 s0, s28, s0
	s_addc_u32 s28, 0, s1
	s_add_u32 s29, s33, s0
	s_cselect_b64 s[0:1], -1, 0
	s_cmp_lg_u64 s[0:1], 0
	s_addc_u32 s28, s30, s28
	v_mad_u64_u32 v[8:9], s[0:1], v0, s28, 0
	v_mul_hi_u32 v10, v0, s29
	v_mov_b32_e32 v11, v4
	v_lshl_add_u64 v[8:9], v[10:11], 0, v[8:9]
	v_mad_u64_u32 v[12:13], s[0:1], v1, s29, 0
	v_add_co_u32_e32 v5, vcc, v8, v12
	v_mad_u64_u32 v[10:11], s[0:1], v1, s28, 0
	s_nop 0
	v_addc_co_u32_e32 v8, vcc, v9, v13, vcc
	v_mov_b32_e32 v9, v4
	s_nop 0
	v_addc_co_u32_e32 v11, vcc, 0, v11, vcc
	v_lshl_add_u64 v[8:9], v[8:9], 0, v[10:11]
	v_mul_lo_u32 v5, s13, v8
	v_mul_lo_u32 v12, s12, v9
	v_mad_u64_u32 v[10:11], s[0:1], s12, v8, 0
	v_add3_u32 v5, v11, v12, v5
	v_sub_u32_e32 v11, v1, v5
	v_mov_b32_e32 v12, s13
	v_sub_co_u32_e32 v20, vcc, v0, v10
	s_nop 1
	v_subb_co_u32_e64 v10, s[0:1], v11, v12, vcc
	v_subrev_co_u32_e64 v11, s[0:1], s12, v20
	v_subb_co_u32_e32 v5, vcc, v1, v5, vcc
	s_nop 0
	v_subbrev_co_u32_e64 v10, s[0:1], 0, v10, s[0:1]
	v_cmp_le_u32_e64 s[0:1], s13, v10
	v_cmp_le_u32_e32 vcc, s13, v5
	s_nop 0
	v_cndmask_b32_e64 v12, 0, -1, s[0:1]
	v_cmp_le_u32_e64 s[0:1], s12, v11
	s_nop 1
	v_cndmask_b32_e64 v11, 0, -1, s[0:1]
	v_cmp_eq_u32_e64 s[0:1], s13, v10
	s_nop 1
	v_cndmask_b32_e64 v21, v12, v11, s[0:1]
	v_lshl_add_u64 v[10:11], v[8:9], 0, 2
	v_lshl_add_u64 v[12:13], v[8:9], 0, 1
	v_cmp_ne_u32_e64 s[0:1], 0, v21
	s_nop 1
	v_cndmask_b32_e64 v11, v13, v11, s[0:1]
	v_cndmask_b32_e64 v13, 0, -1, vcc
	v_cmp_le_u32_e32 vcc, s12, v20
	s_nop 1
	v_cndmask_b32_e64 v20, 0, -1, vcc
	v_cmp_eq_u32_e32 vcc, s13, v5
	s_nop 1
	v_cndmask_b32_e32 v5, v13, v20, vcc
	v_cmp_ne_u32_e32 vcc, 0, v5
	v_cndmask_b32_e64 v5, v12, v10, s[0:1]
	s_nop 0
	v_cndmask_b32_e32 v9, v9, v11, vcc
	v_cndmask_b32_e32 v8, v8, v5, vcc
.LBB12_5:                               ;   in Loop: Header=BB12_3 Depth=1
	s_andn2_saveexec_b64 s[0:1], s[22:23]
	s_cbranch_execz .LBB12_7
; %bb.6:                                ;   in Loop: Header=BB12_3 Depth=1
	s_sub_i32 s22, 0, s12
	v_mul_lo_u32 v5, s22, v17
	v_mul_hi_u32 v5, v17, v5
	v_add_u32_e32 v5, v17, v5
	v_mul_hi_u32 v5, v0, v5
	v_mul_lo_u32 v8, v5, s12
	v_sub_u32_e32 v8, v0, v8
	v_subrev_u32_e32 v9, s12, v8
	v_cmp_le_u32_e32 vcc, s12, v8
	s_nop 1
	v_cndmask_b32_e32 v8, v8, v9, vcc
	v_add_u32_e32 v9, 1, v5
	v_cndmask_b32_e32 v5, v5, v9, vcc
	v_add_u32_e32 v9, 1, v5
	v_cmp_le_u32_e32 vcc, s12, v8
	s_nop 1
	v_cndmask_b32_e32 v8, v5, v9, vcc
	v_mov_b32_e32 v9, v4
.LBB12_7:                               ;   in Loop: Header=BB12_3 Depth=1
	s_or_b64 exec, exec, s[0:1]
	v_mul_lo_u32 v5, v9, s12
	v_mul_lo_u32 v12, v8, s13
	v_mad_u64_u32 v[10:11], s[0:1], v8, s12, 0
	v_add3_u32 v5, v11, v12, v5
	v_sub_co_u32_e32 v10, vcc, v0, v10
	s_cmpk_lt_i32 s18, 0x7a
	s_nop 0
	v_subb_co_u32_e32 v11, vcc, v1, v5, vcc
	s_cbranch_scc1 .LBB12_10
; %bb.8:                                ;   in Loop: Header=BB12_3 Depth=1
	s_mov_b64 s[0:1], 0
	s_cmpk_eq_i32 s18, 0x7a
	s_mov_b64 s[22:23], 0
                                        ; implicit-def: $vgpr12_vgpr13
	s_cbranch_scc0 .LBB12_11
; %bb.9:                                ;   in Loop: Header=BB12_3 Depth=1
	v_lshlrev_b64 v[12:13], 3, v[10:11]
	v_mov_b32_e32 v5, s26
	v_sub_co_u32_e32 v20, vcc, s19, v12
	v_cvt_f64_u32_e32 v[20:21], v20
	s_nop 0
	v_subb_co_u32_e32 v5, vcc, v5, v13, vcc
	v_cvt_f64_u32_e32 v[12:13], v5
	v_ldexp_f64 v[12:13], v[12:13], 32
	v_add_f64 v[12:13], v[12:13], v[20:21]
	v_cmp_gt_f64_e32 vcc, s[20:21], v[12:13]
	s_nop 1
	v_cndmask_b32_e32 v5, 0, v18, vcc
	v_ldexp_f64 v[12:13], v[12:13], v5
	v_rsq_f64_e32 v[20:21], v[12:13]
	v_cndmask_b32_e32 v5, 0, v19, vcc
	v_cmp_class_f64_e32 vcc, v[12:13], v14
	v_mul_f64 v[22:23], v[12:13], v[20:21]
	v_mul_f64 v[20:21], v[20:21], 0.5
	v_fma_f64 v[24:25], -v[20:21], v[22:23], 0.5
	v_fmac_f64_e32 v[22:23], v[22:23], v[24:25]
	v_fma_f64 v[26:27], -v[22:23], v[22:23], v[12:13]
	v_fmac_f64_e32 v[20:21], v[20:21], v[24:25]
	v_fmac_f64_e32 v[22:23], v[26:27], v[20:21]
	v_fma_f64 v[24:25], -v[22:23], v[22:23], v[12:13]
	v_fmac_f64_e32 v[22:23], v[24:25], v[20:21]
	v_ldexp_f64 v[20:21], v[22:23], v5
	v_cndmask_b32_e32 v13, v21, v13, vcc
	v_cndmask_b32_e32 v12, v20, v12, vcc
	v_fma_f64 v[12:13], v[12:13], 0.5, -0.5
	v_floor_f64_e32 v[12:13], v[12:13]
	v_add_f64 v[12:13], v[2:3], -v[12:13]
	v_trunc_f64_e32 v[12:13], v[12:13]
	v_ldexp_f64 v[20:21], v[12:13], s27
	v_floor_f64_e32 v[20:21], v[20:21]
	v_fmac_f64_e32 v[12:13], 0xc1f00000, v[20:21]
	v_cvt_u32_f64_e32 v12, v[12:13]
	v_cvt_u32_f64_e32 v13, v[20:21]
	v_mov_b32_e32 v5, s7
	v_subrev_co_u32_e32 v20, vcc, s6, v10
	v_mul_lo_u32 v26, v8, s5
	s_nop 0
	v_subb_co_u32_e32 v21, vcc, v11, v5, vcc
	v_mov_b32_e32 v5, s24
	v_sub_co_u32_e32 v22, vcc, s25, v12
	v_mul_lo_u32 v28, v13, s16
	s_nop 0
	v_subb_co_u32_e32 v23, vcc, v5, v13, vcc
	v_lshl_add_u64 v[24:25], v[22:23], 0, -1
	v_mul_lo_u32 v5, v25, v22
	v_mul_lo_u32 v25, v24, v23
	v_mad_u64_u32 v[22:23], s[22:23], v24, v22, 0
	v_add3_u32 v23, v23, v25, v5
	v_mul_lo_u32 v5, v9, s4
	v_mad_u64_u32 v[24:25], s[22:23], v8, s4, 0
	v_add3_u32 v25, v25, v26, v5
	;; [unrolled: 3-line block ×3, first 2 shown]
	v_lshl_add_u64 v[24:25], v[24:25], 4, s[2:3]
	v_lshl_add_u64 v[24:25], v[26:27], 4, v[24:25]
	;; [unrolled: 1-line block ×4, first 2 shown]
	v_lshlrev_b64 v[20:21], 3, v[22:23]
	v_and_b32_e32 v20, -16, v20
	v_lshl_add_u64 v[20:21], v[12:13], 0, v[20:21]
	v_lshl_add_u64 v[12:13], v[20:21], 0, 16
	global_store_dwordx2 v[20:21], v[6:7], off offset:16
	s_mov_b64 s[22:23], -1
	s_branch .LBB12_11
.LBB12_10:                              ;   in Loop: Header=BB12_3 Depth=1
	s_mov_b64 s[0:1], -1
	s_mov_b64 s[22:23], 0
                                        ; implicit-def: $vgpr12_vgpr13
.LBB12_11:                              ;   in Loop: Header=BB12_3 Depth=1
	s_and_b64 vcc, exec, s[0:1]
	s_cbranch_vccz .LBB12_14
; %bb.12:                               ;   in Loop: Header=BB12_3 Depth=1
	s_cmpk_eq_i32 s18, 0x79
                                        ; implicit-def: $vgpr12_vgpr13
	s_cbranch_scc0 .LBB12_14
; %bb.13:                               ;   in Loop: Header=BB12_3 Depth=1
	v_lshlrev_b64 v[12:13], 3, v[10:11]
	v_or_b32_e32 v5, 1, v12
	v_cvt_f64_u32_e32 v[12:13], v13
	v_ldexp_f64 v[12:13], v[12:13], 32
	v_cvt_f64_u32_e32 v[20:21], v5
	v_add_f64 v[12:13], v[12:13], v[20:21]
	v_cmp_gt_f64_e32 vcc, s[20:21], v[12:13]
	s_mov_b64 s[22:23], -1
	s_nop 0
	v_cndmask_b32_e32 v5, 0, v18, vcc
	v_ldexp_f64 v[12:13], v[12:13], v5
	v_rsq_f64_e32 v[20:21], v[12:13]
	v_cndmask_b32_e32 v5, 0, v19, vcc
	v_cmp_class_f64_e32 vcc, v[12:13], v14
	v_mul_f64 v[22:23], v[12:13], v[20:21]
	v_mul_f64 v[20:21], v[20:21], 0.5
	v_fma_f64 v[24:25], -v[20:21], v[22:23], 0.5
	v_fmac_f64_e32 v[22:23], v[22:23], v[24:25]
	v_fma_f64 v[26:27], -v[22:23], v[22:23], v[12:13]
	v_fmac_f64_e32 v[20:21], v[20:21], v[24:25]
	v_fmac_f64_e32 v[22:23], v[26:27], v[20:21]
	v_fma_f64 v[24:25], -v[22:23], v[22:23], v[12:13]
	v_fmac_f64_e32 v[22:23], v[24:25], v[20:21]
	v_ldexp_f64 v[20:21], v[22:23], v5
	v_cndmask_b32_e32 v13, v21, v13, vcc
	v_cndmask_b32_e32 v12, v20, v12, vcc
	v_add_f64 v[12:13], v[12:13], -1.0
	v_mul_f64 v[12:13], v[12:13], 0.5
	v_trunc_f64_e32 v[12:13], v[12:13]
	v_ldexp_f64 v[20:21], v[12:13], s27
	v_floor_f64_e32 v[20:21], v[20:21]
	v_fmac_f64_e32 v[12:13], 0xc1f00000, v[20:21]
	v_cvt_u32_f64_e32 v12, v[12:13]
	v_cvt_u32_f64_e32 v13, v[20:21]
	v_mad_u64_u32 v[20:21], s[0:1], v12, v12, v[12:13]
	v_mul_lo_u32 v5, v12, v13
	v_add3_u32 v21, v5, v21, v5
	v_lshrrev_b64 v[20:21], 1, v[20:21]
	v_sub_co_u32_e32 v10, vcc, v10, v20
	v_mul_lo_u32 v5, v9, s4
	v_mul_lo_u32 v20, v8, s5
	v_mad_u64_u32 v[8:9], s[0:1], v8, s4, 0
	v_subb_co_u32_e32 v11, vcc, v11, v21, vcc
	v_add3_u32 v9, v9, v20, v5
	v_mov_b64_e32 v[20:21], s[16:17]
	v_mul_lo_u32 v5, s17, v12
	v_mad_u64_u32 v[20:21], s[0:1], s16, v12, v[20:21]
	v_mul_lo_u32 v12, s16, v13
	v_add3_u32 v21, v5, v21, v12
	v_lshl_add_u64 v[8:9], v[8:9], 4, s[2:3]
	v_lshl_add_u64 v[8:9], v[20:21], 4, v[8:9]
	;; [unrolled: 1-line block ×3, first 2 shown]
	global_store_dwordx2 v[12:13], v[6:7], off
.LBB12_14:                              ;   in Loop: Header=BB12_3 Depth=1
	s_and_b64 vcc, exec, s[22:23]
	s_cbranch_vccz .LBB12_2
; %bb.15:                               ;   in Loop: Header=BB12_3 Depth=1
	global_store_dwordx2 v[12:13], v[6:7], off offset:8
	s_branch .LBB12_2
.LBB12_16:
	s_endpgm
	.section	.rodata,"a",@progbits
	.p2align	6, 0x0
	.amdhsa_kernel _ZL18rocblas_trtri_fillILi128E19rocblas_complex_numIdEPS1_EvP15_rocblas_handle13rocblas_fill_ililT1_llii
		.amdhsa_group_segment_fixed_size 0
		.amdhsa_private_segment_fixed_size 0
		.amdhsa_kernarg_size 328
		.amdhsa_user_sgpr_count 2
		.amdhsa_user_sgpr_dispatch_ptr 0
		.amdhsa_user_sgpr_queue_ptr 0
		.amdhsa_user_sgpr_kernarg_segment_ptr 1
		.amdhsa_user_sgpr_dispatch_id 0
		.amdhsa_user_sgpr_kernarg_preload_length 0
		.amdhsa_user_sgpr_kernarg_preload_offset 0
		.amdhsa_user_sgpr_private_segment_size 0
		.amdhsa_uses_dynamic_stack 0
		.amdhsa_enable_private_segment 0
		.amdhsa_system_sgpr_workgroup_id_x 1
		.amdhsa_system_sgpr_workgroup_id_y 0
		.amdhsa_system_sgpr_workgroup_id_z 1
		.amdhsa_system_sgpr_workgroup_info 0
		.amdhsa_system_vgpr_workitem_id 0
		.amdhsa_next_free_vgpr 29
		.amdhsa_next_free_sgpr 37
		.amdhsa_accum_offset 32
		.amdhsa_reserve_vcc 1
		.amdhsa_float_round_mode_32 0
		.amdhsa_float_round_mode_16_64 0
		.amdhsa_float_denorm_mode_32 3
		.amdhsa_float_denorm_mode_16_64 3
		.amdhsa_dx10_clamp 1
		.amdhsa_ieee_mode 1
		.amdhsa_fp16_overflow 0
		.amdhsa_tg_split 0
		.amdhsa_exception_fp_ieee_invalid_op 0
		.amdhsa_exception_fp_denorm_src 0
		.amdhsa_exception_fp_ieee_div_zero 0
		.amdhsa_exception_fp_ieee_overflow 0
		.amdhsa_exception_fp_ieee_underflow 0
		.amdhsa_exception_fp_ieee_inexact 0
		.amdhsa_exception_int_div_zero 0
	.end_amdhsa_kernel
	.section	.text._ZL18rocblas_trtri_fillILi128E19rocblas_complex_numIdEPS1_EvP15_rocblas_handle13rocblas_fill_ililT1_llii,"axG",@progbits,_ZL18rocblas_trtri_fillILi128E19rocblas_complex_numIdEPS1_EvP15_rocblas_handle13rocblas_fill_ililT1_llii,comdat
.Lfunc_end12:
	.size	_ZL18rocblas_trtri_fillILi128E19rocblas_complex_numIdEPS1_EvP15_rocblas_handle13rocblas_fill_ililT1_llii, .Lfunc_end12-_ZL18rocblas_trtri_fillILi128E19rocblas_complex_numIdEPS1_EvP15_rocblas_handle13rocblas_fill_ililT1_llii
                                        ; -- End function
	.set _ZL18rocblas_trtri_fillILi128E19rocblas_complex_numIdEPS1_EvP15_rocblas_handle13rocblas_fill_ililT1_llii.num_vgpr, 29
	.set _ZL18rocblas_trtri_fillILi128E19rocblas_complex_numIdEPS1_EvP15_rocblas_handle13rocblas_fill_ililT1_llii.num_agpr, 0
	.set _ZL18rocblas_trtri_fillILi128E19rocblas_complex_numIdEPS1_EvP15_rocblas_handle13rocblas_fill_ililT1_llii.numbered_sgpr, 37
	.set _ZL18rocblas_trtri_fillILi128E19rocblas_complex_numIdEPS1_EvP15_rocblas_handle13rocblas_fill_ililT1_llii.num_named_barrier, 0
	.set _ZL18rocblas_trtri_fillILi128E19rocblas_complex_numIdEPS1_EvP15_rocblas_handle13rocblas_fill_ililT1_llii.private_seg_size, 0
	.set _ZL18rocblas_trtri_fillILi128E19rocblas_complex_numIdEPS1_EvP15_rocblas_handle13rocblas_fill_ililT1_llii.uses_vcc, 1
	.set _ZL18rocblas_trtri_fillILi128E19rocblas_complex_numIdEPS1_EvP15_rocblas_handle13rocblas_fill_ililT1_llii.uses_flat_scratch, 0
	.set _ZL18rocblas_trtri_fillILi128E19rocblas_complex_numIdEPS1_EvP15_rocblas_handle13rocblas_fill_ililT1_llii.has_dyn_sized_stack, 0
	.set _ZL18rocblas_trtri_fillILi128E19rocblas_complex_numIdEPS1_EvP15_rocblas_handle13rocblas_fill_ililT1_llii.has_recursion, 0
	.set _ZL18rocblas_trtri_fillILi128E19rocblas_complex_numIdEPS1_EvP15_rocblas_handle13rocblas_fill_ililT1_llii.has_indirect_call, 0
	.section	.AMDGPU.csdata,"",@progbits
; Kernel info:
; codeLenInByte = 1896
; TotalNumSgprs: 43
; NumVgprs: 29
; NumAgprs: 0
; TotalNumVgprs: 29
; ScratchSize: 0
; MemoryBound: 0
; FloatMode: 240
; IeeeMode: 1
; LDSByteSize: 0 bytes/workgroup (compile time only)
; SGPRBlocks: 5
; VGPRBlocks: 3
; NumSGPRsForWavesPerEU: 43
; NumVGPRsForWavesPerEU: 29
; AccumOffset: 32
; Occupancy: 8
; WaveLimiterHint : 0
; COMPUTE_PGM_RSRC2:SCRATCH_EN: 0
; COMPUTE_PGM_RSRC2:USER_SGPR: 2
; COMPUTE_PGM_RSRC2:TRAP_HANDLER: 0
; COMPUTE_PGM_RSRC2:TGID_X_EN: 1
; COMPUTE_PGM_RSRC2:TGID_Y_EN: 0
; COMPUTE_PGM_RSRC2:TGID_Z_EN: 1
; COMPUTE_PGM_RSRC2:TIDIG_COMP_CNT: 0
; COMPUTE_PGM_RSRC3_GFX90A:ACCUM_OFFSET: 7
; COMPUTE_PGM_RSRC3_GFX90A:TG_SPLIT: 0
	.section	.text._ZL26rocblas_trtri_small_kernelILi16E19rocblas_complex_numIdEPKS1_PS1_Ev13rocblas_fill_17rocblas_diagonal_iT1_lillT2_lilli,"axG",@progbits,_ZL26rocblas_trtri_small_kernelILi16E19rocblas_complex_numIdEPKS1_PS1_Ev13rocblas_fill_17rocblas_diagonal_iT1_lillT2_lilli,comdat
	.globl	_ZL26rocblas_trtri_small_kernelILi16E19rocblas_complex_numIdEPKS1_PS1_Ev13rocblas_fill_17rocblas_diagonal_iT1_lillT2_lilli ; -- Begin function _ZL26rocblas_trtri_small_kernelILi16E19rocblas_complex_numIdEPKS1_PS1_Ev13rocblas_fill_17rocblas_diagonal_iT1_lillT2_lilli
	.p2align	8
	.type	_ZL26rocblas_trtri_small_kernelILi16E19rocblas_complex_numIdEPKS1_PS1_Ev13rocblas_fill_17rocblas_diagonal_iT1_lillT2_lilli,@function
_ZL26rocblas_trtri_small_kernelILi16E19rocblas_complex_numIdEPKS1_PS1_Ev13rocblas_fill_17rocblas_diagonal_iT1_lillT2_lilli: ; @_ZL26rocblas_trtri_small_kernelILi16E19rocblas_complex_numIdEPKS1_PS1_Ev13rocblas_fill_17rocblas_diagonal_iT1_lillT2_lilli
; %bb.0:
	s_load_dwordx4 s[16:19], s[0:1], 0x0
	s_waitcnt lgkmcnt(0)
	s_cmp_lt_i32 s18, 1
	s_cbranch_scc1 .LBB13_41
; %bb.1:
	s_load_dwordx8 s[8:15], s[0:1], 0x28
	v_cmp_le_u32_e64 s[4:5], s18, v0
	v_cmp_gt_u32_e64 s[6:7], s18, v0
	s_and_saveexec_b64 s[24:25], s[6:7]
	s_cbranch_execz .LBB13_9
; %bb.2:
	s_load_dwordx4 s[20:23], s[0:1], 0x10
	s_load_dword s26, s[0:1], 0x20
	s_waitcnt lgkmcnt(0)
	s_mul_i32 s9, s9, s3
	s_mul_hi_u32 s19, s8, s3
	s_add_i32 s9, s19, s9
	s_mul_i32 s11, s11, s2
	s_mul_hi_u32 s19, s10, s2
	s_add_i32 s11, s19, s11
	s_mul_i32 s8, s8, s3
	s_mul_i32 s10, s10, s2
	s_cmpk_lg_i32 s16, 0x7a
	s_mov_b64 s[28:29], -1
	s_cbranch_scc0 .LBB13_6
; %bb.3:
	s_add_i32 s33, s18, -1
	s_ashr_i32 s27, s26, 31
	s_lshl_b32 s19, s18, 4
	s_lshl_b64 s[28:29], s[10:11], 4
	s_lshl_b64 s[30:31], s[8:9], 4
	s_add_u32 s30, s28, s30
	s_addc_u32 s31, s29, s31
	s_mul_i32 s28, s27, s33
	s_mul_hi_u32 s29, s26, s33
	s_add_i32 s29, s29, s28
	s_mul_i32 s28, s26, s33
	s_lshl_b64 s[28:29], s[28:29], 4
	s_add_u32 s30, s30, s28
	s_addc_u32 s31, s31, s29
	s_lshl_b64 s[28:29], s[22:23], 4
	s_add_u32 s28, s30, s28
	s_addc_u32 s29, s31, s29
	s_add_u32 s28, s20, s28
	s_addc_u32 s29, s21, s29
	s_lshl_b64 s[30:31], s[26:27], 4
	v_sub_u32_e32 v1, s33, v0
	v_lshlrev_b32_e32 v2, 4, v0
	v_mov_b32_e32 v3, 0
	s_sub_u32 s30, 0, s30
	v_lshlrev_b32_e32 v1, 4, v1
	v_lshl_add_u64 v[2:3], s[28:29], 0, v[2:3]
	s_mov_b64 s[28:29], 0
	s_subb_u32 s31, 0, s31
	s_mov_b32 s27, s18
.LBB13_4:                               ; =>This Inner Loop Header: Depth=1
	global_load_dwordx4 v[4:7], v[2:3], off
	s_add_i32 s27, s27, -1
	v_cmp_le_u32_e32 vcc, s27, v0
	v_lshl_add_u64 v[2:3], v[2:3], 0, s[30:31]
	s_or_b64 s[28:29], vcc, s[28:29]
	s_waitcnt vmcnt(0)
	ds_write2_b64 v1, v[4:5], v[6:7] offset1:1
	v_add_u32_e32 v1, s19, v1
	s_andn2_b64 exec, exec, s[28:29]
	s_cbranch_execnz .LBB13_4
; %bb.5:
	s_or_b64 exec, exec, s[28:29]
	s_mov_b64 s[28:29], 0
.LBB13_6:
	s_and_b64 vcc, exec, s[28:29]
	s_cbranch_vccz .LBB13_9
; %bb.7:
	s_lshl_b64 s[8:9], s[8:9], 4
	s_add_u32 s19, s20, s8
	s_addc_u32 s20, s21, s9
	s_lshl_b64 s[8:9], s[22:23], 4
	s_add_u32 s19, s19, s8
	s_addc_u32 s20, s20, s9
	s_lshl_b64 s[8:9], s[10:11], 4
	s_add_u32 s8, s19, s8
	s_addc_u32 s9, s20, s9
	s_ashr_i32 s27, s26, 31
	v_lshlrev_b32_e32 v2, 4, v0
	v_mov_b32_e32 v3, 0
	v_lshl_add_u64 v[4:5], s[8:9], 0, v[2:3]
	v_add_u32_e32 v1, 1, v0
	s_lshl_b32 s19, s18, 4
	s_lshl_b64 s[8:9], s[26:27], 4
	s_mov_b64 s[10:11], 0
.LBB13_8:                               ; =>This Inner Loop Header: Depth=1
	global_load_dwordx4 v[6:9], v[4:5], off
	v_add_u32_e32 v1, -1, v1
	v_cmp_eq_u32_e32 vcc, 0, v1
	v_lshl_add_u64 v[4:5], v[4:5], 0, s[8:9]
	s_or_b64 s[10:11], vcc, s[10:11]
	s_waitcnt vmcnt(0)
	ds_write2_b64 v2, v[6:7], v[8:9] offset1:1
	v_add_u32_e32 v2, s19, v2
	s_andn2_b64 exec, exec, s[10:11]
	s_cbranch_execnz .LBB13_8
.LBB13_9:
	s_or_b64 exec, exec, s[24:25]
	s_waitcnt lgkmcnt(0)
	; wave barrier
                                        ; implicit-def: $vgpr10
	s_and_saveexec_b64 s[8:9], s[4:5]
	s_xor_b64 s[4:5], exec, s[8:9]
; %bb.10:
	v_mad_u64_u32 v[10:11], s[8:9], v0, s18, v[0:1]
; %bb.11:
	s_andn2_saveexec_b64 s[8:9], s[4:5]
	s_cbranch_execz .LBB13_22
; %bb.12:
	v_mad_u64_u32 v[10:11], s[4:5], v0, s18, v[0:1]
	s_cmpk_eq_i32 s17, 0x84
	v_lshlrev_b32_e32 v1, 4, v10
	s_cbranch_scc1 .LBB13_20
; %bb.13:
	ds_read_b128 v[2:5], v1
	v_mov_b64_e32 v[8:9], 0
	v_mov_b64_e32 v[6:7], 1.0
	s_waitcnt lgkmcnt(0)
	v_cmp_neq_f64_e32 vcc, 0, v[2:3]
	v_cmp_neq_f64_e64 s[4:5], 0, v[4:5]
	s_or_b64 s[10:11], vcc, s[4:5]
	s_and_saveexec_b64 s[4:5], s[10:11]
	s_cbranch_execz .LBB13_19
; %bb.14:
	v_cmp_ngt_f64_e64 s[10:11], |v[2:3]|, |v[4:5]|
                                        ; implicit-def: $vgpr8_vgpr9
	s_and_saveexec_b64 s[20:21], s[10:11]
	s_xor_b64 s[10:11], exec, s[20:21]
	s_cbranch_execz .LBB13_16
; %bb.15:
	v_div_scale_f64 v[6:7], s[20:21], v[4:5], v[4:5], v[2:3]
	v_rcp_f64_e32 v[8:9], v[6:7]
	v_div_scale_f64 v[12:13], vcc, v[2:3], v[4:5], v[2:3]
	v_fma_f64 v[14:15], -v[6:7], v[8:9], 1.0
	v_fmac_f64_e32 v[8:9], v[8:9], v[14:15]
	v_fma_f64 v[14:15], -v[6:7], v[8:9], 1.0
	v_fmac_f64_e32 v[8:9], v[8:9], v[14:15]
	v_mul_f64 v[14:15], v[12:13], v[8:9]
	v_fma_f64 v[6:7], -v[6:7], v[14:15], v[12:13]
	v_div_fmas_f64 v[6:7], v[6:7], v[8:9], v[14:15]
	v_div_fixup_f64 v[6:7], v[6:7], v[4:5], v[2:3]
	v_fmac_f64_e32 v[4:5], v[2:3], v[6:7]
	v_div_scale_f64 v[2:3], s[20:21], v[4:5], v[4:5], 1.0
	v_rcp_f64_e32 v[8:9], v[2:3]
	s_nop 0
	v_fma_f64 v[12:13], -v[2:3], v[8:9], 1.0
	v_fmac_f64_e32 v[8:9], v[8:9], v[12:13]
	v_fma_f64 v[12:13], -v[2:3], v[8:9], 1.0
	v_fmac_f64_e32 v[8:9], v[8:9], v[12:13]
	v_div_scale_f64 v[12:13], vcc, 1.0, v[4:5], 1.0
	v_mul_f64 v[14:15], v[12:13], v[8:9]
	v_fma_f64 v[2:3], -v[2:3], v[14:15], v[12:13]
	s_nop 1
	v_div_fmas_f64 v[2:3], v[2:3], v[8:9], v[14:15]
	v_div_fixup_f64 v[8:9], v[2:3], v[4:5], 1.0
	v_mul_f64 v[6:7], v[6:7], v[8:9]
	v_xor_b32_e32 v9, 0x80000000, v9
                                        ; implicit-def: $vgpr2_vgpr3
.LBB13_16:
	s_andn2_saveexec_b64 s[10:11], s[10:11]
	s_cbranch_execz .LBB13_18
; %bb.17:
	v_div_scale_f64 v[6:7], s[20:21], v[2:3], v[2:3], v[4:5]
	v_rcp_f64_e32 v[8:9], v[6:7]
	v_div_scale_f64 v[12:13], vcc, v[4:5], v[2:3], v[4:5]
	v_fma_f64 v[14:15], -v[6:7], v[8:9], 1.0
	v_fmac_f64_e32 v[8:9], v[8:9], v[14:15]
	v_fma_f64 v[14:15], -v[6:7], v[8:9], 1.0
	v_fmac_f64_e32 v[8:9], v[8:9], v[14:15]
	v_mul_f64 v[14:15], v[12:13], v[8:9]
	v_fma_f64 v[6:7], -v[6:7], v[14:15], v[12:13]
	v_div_fmas_f64 v[6:7], v[6:7], v[8:9], v[14:15]
	v_div_fixup_f64 v[8:9], v[6:7], v[2:3], v[4:5]
	v_fmac_f64_e32 v[2:3], v[4:5], v[8:9]
	v_div_scale_f64 v[4:5], s[20:21], v[2:3], v[2:3], 1.0
	v_rcp_f64_e32 v[6:7], v[4:5]
	s_nop 0
	v_fma_f64 v[12:13], -v[4:5], v[6:7], 1.0
	v_fmac_f64_e32 v[6:7], v[6:7], v[12:13]
	v_fma_f64 v[12:13], -v[4:5], v[6:7], 1.0
	v_fmac_f64_e32 v[6:7], v[6:7], v[12:13]
	v_div_scale_f64 v[12:13], vcc, 1.0, v[2:3], 1.0
	v_mul_f64 v[14:15], v[12:13], v[6:7]
	v_fma_f64 v[4:5], -v[4:5], v[14:15], v[12:13]
	s_nop 1
	v_div_fmas_f64 v[4:5], v[4:5], v[6:7], v[14:15]
	v_div_fixup_f64 v[6:7], v[4:5], v[2:3], 1.0
	v_mul_f64 v[8:9], v[8:9], -v[6:7]
.LBB13_18:
	s_or_b64 exec, exec, s[10:11]
.LBB13_19:
	s_or_b64 exec, exec, s[4:5]
	s_branch .LBB13_21
.LBB13_20:
	v_mov_b64_e32 v[8:9], 0
	v_mov_b64_e32 v[6:7], 1.0
.LBB13_21:
	ds_write_b128 v1, v[6:9]
.LBB13_22:
	s_or_b64 exec, exec, s[8:9]
	v_lshlrev_b32_e32 v1, 4, v0
	s_lshl_b32 s10, s18, 4
	v_lshlrev_b32_e32 v6, 4, v10
	v_add_u32_e32 v7, s10, v1
	s_mov_b32 s8, 16
	s_add_i32 s9, s10, 16
	s_mov_b32 s11, 0
	s_waitcnt lgkmcnt(0)
	; wave barrier
	s_branch .LBB13_24
.LBB13_23:                              ;   in Loop: Header=BB13_24 Depth=1
	s_add_i32 s8, s8, s9
	s_cmp_eq_u32 s11, s18
	v_add_u32_e32 v7, s10, v7
	; wave barrier
	s_cbranch_scc1 .LBB13_33
.LBB13_24:                              ; =>This Loop Header: Depth=1
                                        ;     Child Loop BB13_29 Depth 2
	v_cmp_lt_u32_e32 vcc, s11, v0
	v_mov_b64_e32 v[2:3], 0
	s_mul_i32 s17, s11, s18
	v_mov_b64_e32 v[4:5], 0
	s_and_saveexec_b64 s[4:5], vcc
	s_cbranch_execz .LBB13_26
; %bb.25:                               ;   in Loop: Header=BB13_24 Depth=1
	s_lshl_b32 s19, s17, 4
	s_lshl_b32 s20, s11, 4
	v_add_u32_e32 v8, s19, v1
	s_add_i32 s19, s20, s19
	v_mov_b32_e32 v2, s19
	ds_read_b128 v[2:5], v2
	ds_read_b128 v[8:11], v8
	s_waitcnt lgkmcnt(0)
	v_mul_f64 v[12:13], v[4:5], v[10:11]
	v_mul_f64 v[10:11], v[2:3], v[10:11]
	v_fma_f64 v[2:3], v[2:3], v[8:9], -v[12:13]
	v_fmac_f64_e32 v[10:11], v[4:5], v[8:9]
	v_add_f64 v[2:3], v[2:3], 0
	v_add_f64 v[4:5], v[10:11], 0
.LBB13_26:                              ;   in Loop: Header=BB13_24 Depth=1
	s_or_b64 exec, exec, s[4:5]
	s_add_i32 s11, s11, 1
	s_cmp_ge_i32 s11, s18
	; wave barrier
	s_cbranch_scc1 .LBB13_23
; %bb.27:                               ;   in Loop: Header=BB13_24 Depth=1
	v_lshl_add_u32 v8, s17, 4, v1
	s_mov_b32 s17, s8
	v_mov_b32_e32 v9, v7
	s_mov_b32 s19, s11
	s_branch .LBB13_29
.LBB13_28:                              ;   in Loop: Header=BB13_29 Depth=2
	s_or_b64 exec, exec, s[4:5]
	s_add_i32 s19, s19, 1
	s_add_i32 s17, s17, 16
	s_cmp_eq_u32 s18, s19
	v_add_u32_e32 v9, s10, v9
	; wave barrier
	s_cbranch_scc1 .LBB13_23
.LBB13_29:                              ;   Parent Loop BB13_24 Depth=1
                                        ; =>  This Inner Loop Header: Depth=2
	v_cmp_eq_u32_e32 vcc, s19, v0
	s_and_saveexec_b64 s[4:5], vcc
	s_cbranch_execz .LBB13_31
; %bb.30:                               ;   in Loop: Header=BB13_29 Depth=2
	ds_read_b128 v[10:13], v6
	v_add_f64 v[16:17], -v[2:3], 0
	s_waitcnt lgkmcnt(0)
	v_mul_f64 v[14:15], v[4:5], v[12:13]
	v_mul_f64 v[18:19], v[4:5], v[10:11]
	v_fmac_f64_e32 v[14:15], v[16:17], v[10:11]
	v_fma_f64 v[16:17], v[16:17], v[12:13], -v[18:19]
	ds_write_b128 v8, v[14:17]
.LBB13_31:                              ;   in Loop: Header=BB13_29 Depth=2
	s_or_b64 exec, exec, s[4:5]
	v_cmp_lt_u32_e32 vcc, s19, v0
	s_waitcnt lgkmcnt(0)
	; wave barrier
	s_and_saveexec_b64 s[4:5], vcc
	s_cbranch_execz .LBB13_28
; %bb.32:                               ;   in Loop: Header=BB13_29 Depth=2
	v_mov_b32_e32 v14, s17
	ds_read_b128 v[10:13], v9
	ds_read_b128 v[14:17], v14
	s_waitcnt lgkmcnt(0)
	v_mul_f64 v[18:19], v[16:17], v[12:13]
	v_mul_f64 v[12:13], v[14:15], v[12:13]
	v_fma_f64 v[14:15], v[14:15], v[10:11], -v[18:19]
	v_fmac_f64_e32 v[12:13], v[16:17], v[10:11]
	v_add_f64 v[2:3], v[2:3], v[14:15]
	v_add_f64 v[4:5], v[4:5], v[12:13]
	s_branch .LBB13_28
.LBB13_33:
	s_and_saveexec_b64 s[4:5], s[6:7]
	s_cbranch_execz .LBB13_41
; %bb.34:
	s_load_dwordx4 s[20:23], s[0:1], 0x50
	s_load_dword s4, s[0:1], 0x48
	s_mov_b64 s[6:7], -1
	s_waitcnt lgkmcnt(0)
	s_mul_i32 s1, s21, s3
	s_mul_hi_u32 s5, s20, s3
	s_mul_i32 s0, s20, s3
	s_mul_i32 s3, s23, s2
	s_add_i32 s1, s5, s1
	s_mul_hi_u32 s5, s22, s2
	s_add_i32 s3, s5, s3
	s_mul_i32 s2, s22, s2
	s_cmpk_lg_i32 s16, 0x7a
	s_cbranch_scc0 .LBB13_38
; %bb.35:
	s_add_i32 s11, s18, -1
	s_ashr_i32 s5, s4, 31
	s_lshl_b64 s[6:7], s[2:3], 4
	s_lshl_b64 s[8:9], s[0:1], 4
	s_add_u32 s8, s6, s8
	s_addc_u32 s9, s7, s9
	s_mul_i32 s6, s5, s11
	s_mul_hi_u32 s7, s4, s11
	s_add_i32 s7, s7, s6
	s_mul_i32 s6, s4, s11
	s_lshl_b64 s[6:7], s[6:7], 4
	s_add_u32 s8, s8, s6
	s_addc_u32 s9, s9, s7
	s_lshl_b64 s[6:7], s[14:15], 4
	s_add_u32 s6, s8, s6
	s_addc_u32 s7, s9, s7
	s_add_u32 s6, s12, s6
	v_sub_u32_e32 v2, s11, v0
	s_addc_u32 s7, s13, s7
	s_lshl_b64 s[8:9], s[4:5], 4
	v_lshlrev_b32_e32 v4, 4, v2
	v_lshlrev_b32_e32 v2, 4, v0
	v_mov_b32_e32 v3, 0
	s_sub_u32 s8, 0, s8
	v_lshl_add_u64 v[2:3], s[6:7], 0, v[2:3]
	s_mov_b64 s[6:7], 0
	s_subb_u32 s9, 0, s9
.LBB13_36:                              ; =>This Inner Loop Header: Depth=1
	ds_read2_b64 v[6:9], v4 offset1:1
	s_add_i32 s18, s18, -1
	v_cmp_le_u32_e32 vcc, s18, v0
	v_add_u32_e32 v4, s10, v4
	s_or_b64 s[6:7], vcc, s[6:7]
	s_waitcnt lgkmcnt(0)
	global_store_dwordx4 v[2:3], v[6:9], off
	v_lshl_add_u64 v[2:3], v[2:3], 0, s[8:9]
	s_andn2_b64 exec, exec, s[6:7]
	s_cbranch_execnz .LBB13_36
; %bb.37:
	s_or_b64 exec, exec, s[6:7]
	s_mov_b64 s[6:7], 0
.LBB13_38:
	s_and_b64 vcc, exec, s[6:7]
	s_cbranch_vccz .LBB13_41
; %bb.39:
	s_lshl_b64 s[0:1], s[0:1], 4
	s_add_u32 s5, s12, s0
	s_addc_u32 s6, s13, s1
	s_lshl_b64 s[0:1], s[14:15], 4
	s_add_u32 s5, s5, s0
	s_addc_u32 s6, s6, s1
	;; [unrolled: 3-line block ×3, first 2 shown]
	s_ashr_i32 s5, s4, 31
	v_lshlrev_b32_e32 v2, 4, v0
	v_mov_b32_e32 v3, 0
	v_lshl_add_u64 v[2:3], s[0:1], 0, v[2:3]
	v_add_u32_e32 v0, 1, v0
	s_lshl_b64 s[0:1], s[4:5], 4
	s_mov_b64 s[2:3], 0
.LBB13_40:                              ; =>This Inner Loop Header: Depth=1
	ds_read2_b64 v[4:7], v1 offset1:1
	v_add_u32_e32 v0, -1, v0
	v_cmp_eq_u32_e32 vcc, 0, v0
	v_add_u32_e32 v1, s10, v1
	s_or_b64 s[2:3], vcc, s[2:3]
	s_waitcnt lgkmcnt(0)
	global_store_dwordx4 v[2:3], v[4:7], off
	v_lshl_add_u64 v[2:3], v[2:3], 0, s[0:1]
	s_andn2_b64 exec, exec, s[2:3]
	s_cbranch_execnz .LBB13_40
.LBB13_41:
	s_endpgm
	.section	.rodata,"a",@progbits
	.p2align	6, 0x0
	.amdhsa_kernel _ZL26rocblas_trtri_small_kernelILi16E19rocblas_complex_numIdEPKS1_PS1_Ev13rocblas_fill_17rocblas_diagonal_iT1_lillT2_lilli
		.amdhsa_group_segment_fixed_size 4096
		.amdhsa_private_segment_fixed_size 0
		.amdhsa_kernarg_size 100
		.amdhsa_user_sgpr_count 2
		.amdhsa_user_sgpr_dispatch_ptr 0
		.amdhsa_user_sgpr_queue_ptr 0
		.amdhsa_user_sgpr_kernarg_segment_ptr 1
		.amdhsa_user_sgpr_dispatch_id 0
		.amdhsa_user_sgpr_kernarg_preload_length 0
		.amdhsa_user_sgpr_kernarg_preload_offset 0
		.amdhsa_user_sgpr_private_segment_size 0
		.amdhsa_uses_dynamic_stack 0
		.amdhsa_enable_private_segment 0
		.amdhsa_system_sgpr_workgroup_id_x 1
		.amdhsa_system_sgpr_workgroup_id_y 0
		.amdhsa_system_sgpr_workgroup_id_z 1
		.amdhsa_system_sgpr_workgroup_info 0
		.amdhsa_system_vgpr_workitem_id 0
		.amdhsa_next_free_vgpr 20
		.amdhsa_next_free_sgpr 34
		.amdhsa_accum_offset 20
		.amdhsa_reserve_vcc 1
		.amdhsa_float_round_mode_32 0
		.amdhsa_float_round_mode_16_64 0
		.amdhsa_float_denorm_mode_32 3
		.amdhsa_float_denorm_mode_16_64 3
		.amdhsa_dx10_clamp 1
		.amdhsa_ieee_mode 1
		.amdhsa_fp16_overflow 0
		.amdhsa_tg_split 0
		.amdhsa_exception_fp_ieee_invalid_op 0
		.amdhsa_exception_fp_denorm_src 0
		.amdhsa_exception_fp_ieee_div_zero 0
		.amdhsa_exception_fp_ieee_overflow 0
		.amdhsa_exception_fp_ieee_underflow 0
		.amdhsa_exception_fp_ieee_inexact 0
		.amdhsa_exception_int_div_zero 0
	.end_amdhsa_kernel
	.section	.text._ZL26rocblas_trtri_small_kernelILi16E19rocblas_complex_numIdEPKS1_PS1_Ev13rocblas_fill_17rocblas_diagonal_iT1_lillT2_lilli,"axG",@progbits,_ZL26rocblas_trtri_small_kernelILi16E19rocblas_complex_numIdEPKS1_PS1_Ev13rocblas_fill_17rocblas_diagonal_iT1_lillT2_lilli,comdat
.Lfunc_end13:
	.size	_ZL26rocblas_trtri_small_kernelILi16E19rocblas_complex_numIdEPKS1_PS1_Ev13rocblas_fill_17rocblas_diagonal_iT1_lillT2_lilli, .Lfunc_end13-_ZL26rocblas_trtri_small_kernelILi16E19rocblas_complex_numIdEPKS1_PS1_Ev13rocblas_fill_17rocblas_diagonal_iT1_lillT2_lilli
                                        ; -- End function
	.set _ZL26rocblas_trtri_small_kernelILi16E19rocblas_complex_numIdEPKS1_PS1_Ev13rocblas_fill_17rocblas_diagonal_iT1_lillT2_lilli.num_vgpr, 20
	.set _ZL26rocblas_trtri_small_kernelILi16E19rocblas_complex_numIdEPKS1_PS1_Ev13rocblas_fill_17rocblas_diagonal_iT1_lillT2_lilli.num_agpr, 0
	.set _ZL26rocblas_trtri_small_kernelILi16E19rocblas_complex_numIdEPKS1_PS1_Ev13rocblas_fill_17rocblas_diagonal_iT1_lillT2_lilli.numbered_sgpr, 34
	.set _ZL26rocblas_trtri_small_kernelILi16E19rocblas_complex_numIdEPKS1_PS1_Ev13rocblas_fill_17rocblas_diagonal_iT1_lillT2_lilli.num_named_barrier, 0
	.set _ZL26rocblas_trtri_small_kernelILi16E19rocblas_complex_numIdEPKS1_PS1_Ev13rocblas_fill_17rocblas_diagonal_iT1_lillT2_lilli.private_seg_size, 0
	.set _ZL26rocblas_trtri_small_kernelILi16E19rocblas_complex_numIdEPKS1_PS1_Ev13rocblas_fill_17rocblas_diagonal_iT1_lillT2_lilli.uses_vcc, 1
	.set _ZL26rocblas_trtri_small_kernelILi16E19rocblas_complex_numIdEPKS1_PS1_Ev13rocblas_fill_17rocblas_diagonal_iT1_lillT2_lilli.uses_flat_scratch, 0
	.set _ZL26rocblas_trtri_small_kernelILi16E19rocblas_complex_numIdEPKS1_PS1_Ev13rocblas_fill_17rocblas_diagonal_iT1_lillT2_lilli.has_dyn_sized_stack, 0
	.set _ZL26rocblas_trtri_small_kernelILi16E19rocblas_complex_numIdEPKS1_PS1_Ev13rocblas_fill_17rocblas_diagonal_iT1_lillT2_lilli.has_recursion, 0
	.set _ZL26rocblas_trtri_small_kernelILi16E19rocblas_complex_numIdEPKS1_PS1_Ev13rocblas_fill_17rocblas_diagonal_iT1_lillT2_lilli.has_indirect_call, 0
	.section	.AMDGPU.csdata,"",@progbits
; Kernel info:
; codeLenInByte = 1696
; TotalNumSgprs: 40
; NumVgprs: 20
; NumAgprs: 0
; TotalNumVgprs: 20
; ScratchSize: 0
; MemoryBound: 0
; FloatMode: 240
; IeeeMode: 1
; LDSByteSize: 4096 bytes/workgroup (compile time only)
; SGPRBlocks: 4
; VGPRBlocks: 2
; NumSGPRsForWavesPerEU: 40
; NumVGPRsForWavesPerEU: 20
; AccumOffset: 20
; Occupancy: 8
; WaveLimiterHint : 0
; COMPUTE_PGM_RSRC2:SCRATCH_EN: 0
; COMPUTE_PGM_RSRC2:USER_SGPR: 2
; COMPUTE_PGM_RSRC2:TRAP_HANDLER: 0
; COMPUTE_PGM_RSRC2:TGID_X_EN: 1
; COMPUTE_PGM_RSRC2:TGID_Y_EN: 0
; COMPUTE_PGM_RSRC2:TGID_Z_EN: 1
; COMPUTE_PGM_RSRC2:TIDIG_COMP_CNT: 0
; COMPUTE_PGM_RSRC3_GFX90A:ACCUM_OFFSET: 4
; COMPUTE_PGM_RSRC3_GFX90A:TG_SPLIT: 0
	.section	.text._ZL29rocblas_trtri_diagonal_kernelILi16E19rocblas_complex_numIdEPKS1_PS1_Ev13rocblas_fill_17rocblas_diagonal_iT1_lillT2_lilli,"axG",@progbits,_ZL29rocblas_trtri_diagonal_kernelILi16E19rocblas_complex_numIdEPKS1_PS1_Ev13rocblas_fill_17rocblas_diagonal_iT1_lillT2_lilli,comdat
	.globl	_ZL29rocblas_trtri_diagonal_kernelILi16E19rocblas_complex_numIdEPKS1_PS1_Ev13rocblas_fill_17rocblas_diagonal_iT1_lillT2_lilli ; -- Begin function _ZL29rocblas_trtri_diagonal_kernelILi16E19rocblas_complex_numIdEPKS1_PS1_Ev13rocblas_fill_17rocblas_diagonal_iT1_lillT2_lilli
	.p2align	8
	.type	_ZL29rocblas_trtri_diagonal_kernelILi16E19rocblas_complex_numIdEPKS1_PS1_Ev13rocblas_fill_17rocblas_diagonal_iT1_lillT2_lilli,@function
_ZL29rocblas_trtri_diagonal_kernelILi16E19rocblas_complex_numIdEPKS1_PS1_Ev13rocblas_fill_17rocblas_diagonal_iT1_lillT2_lilli: ; @_ZL29rocblas_trtri_diagonal_kernelILi16E19rocblas_complex_numIdEPKS1_PS1_Ev13rocblas_fill_17rocblas_diagonal_iT1_lillT2_lilli
; %bb.0:
	s_load_dwordx4 s[20:23], s[0:1], 0x0
	s_waitcnt lgkmcnt(0)
	s_ashr_i32 s4, s22, 31
	s_lshr_b32 s4, s4, 27
	s_add_i32 s4, s22, s4
	s_ashr_i32 s4, s4, 5
	v_cvt_f32_u32_e32 v1, s4
	s_sub_i32 s5, 0, s4
	v_rcp_iflag_f32_e32 v1, v1
	s_nop 0
	v_mul_f32_e32 v1, 0x4f7ffffe, v1
	v_cvt_u32_f32_e32 v1, v1
	s_nop 0
	v_readfirstlane_b32 s6, v1
	s_mul_i32 s5, s5, s6
	s_mul_hi_u32 s5, s6, s5
	s_add_i32 s6, s6, s5
	s_mul_hi_u32 s5, s2, s6
	s_mul_i32 s6, s5, s4
	s_sub_i32 s6, s2, s6
	s_add_i32 s7, s5, 1
	s_sub_i32 s8, s6, s4
	s_cmp_ge_u32 s6, s4
	s_cselect_b32 s5, s7, s5
	s_cselect_b32 s6, s8, s6
	s_add_i32 s7, s5, 1
	s_cmp_ge_u32 s6, s4
	s_cselect_b32 s35, s7, s5
	s_mul_i32 s4, s35, s4
	s_sub_i32 s36, s2, s4
	s_lshl_b32 s2, s36, 4
	s_cmp_eq_u32 s22, s2
	s_cbranch_scc1 .LBB14_98
; %bb.1:
	s_sub_i32 s34, s22, s2
	s_min_u32 s33, s34, 16
	s_lshl_b32 s2, s33, 1
	v_cmp_gt_u32_e64 s[6:7], s33, v0
	v_cmp_le_u32_e64 s[4:5], s33, v0
	v_cmp_gt_u32_e64 s[8:9], s2, v0
	v_cmp_le_u32_e32 vcc, s2, v0
	v_mov_b32_e32 v10, v0
	s_and_saveexec_b64 s[10:11], s[4:5]
	s_cbranch_execz .LBB14_7
; %bb.2:
                                        ; implicit-def: $vgpr10
	s_and_saveexec_b64 s[12:13], vcc
	s_xor_b64 s[12:13], exec, s[12:13]
; %bb.3:
	v_subrev_u32_e32 v10, s2, v0
; %bb.4:
	s_andn2_saveexec_b64 s[12:13], s[12:13]
; %bb.5:
	v_subrev_u32_e32 v10, s33, v0
; %bb.6:
	s_or_b64 exec, exec, s[12:13]
.LBB14_7:
	s_or_b64 exec, exec, s[10:11]
	s_load_dwordx4 s[24:27], s[0:1], 0x10
	s_load_dword s10, s[0:1], 0x20
	s_load_dwordx8 s[12:19], s[0:1], 0x28
	v_mov_b32_e32 v1, 0x3000
	v_cndmask_b32_e64 v1, 0, v1, s[8:9]
	v_mov_b32_e32 v2, 0x2000
	v_cndmask_b32_e64 v12, v1, v2, s[6:7]
	s_waitcnt lgkmcnt(0)
	s_ashr_i32 s11, s10, 31
	s_mul_i32 s2, s13, s3
	s_mul_hi_u32 s6, s12, s3
	s_add_i32 s7, s6, s2
	s_mul_i32 s6, s12, s3
	s_lshl_b64 s[12:13], s[10:11], 5
	s_add_u32 s2, s12, 32
	s_addc_u32 s12, s13, 0
	s_mul_i32 s12, s12, s36
	s_mul_hi_u32 s13, s2, s36
	s_add_i32 s13, s13, s12
	s_mul_i32 s12, s2, s36
	s_mul_i32 s2, s15, s35
	s_mul_hi_u32 s15, s14, s35
	s_add_i32 s15, s15, s2
	s_mul_i32 s14, s14, s35
	s_and_saveexec_b64 s[22:23], vcc
	s_xor_b64 s[22:23], exec, s[22:23]
	s_cbranch_execz .LBB14_17
; %bb.8:
	s_mul_i32 s2, s33, 3
	v_cmp_gt_u32_e32 vcc, s2, v0
	s_and_saveexec_b64 s[28:29], vcc
	s_cbranch_execz .LBB14_16
; %bb.9:
	s_cmpk_eq_i32 s20, 0x7a
	s_mov_b64 s[30:31], -1
	s_cbranch_scc1 .LBB14_13
; %bb.10:
	s_add_i32 s30, s33, -1
	s_mul_i32 s31, s33, s30
	s_lshl_b32 s42, s33, 4
	s_add_i32 s2, s33, 1
	s_lshl_b32 s31, s31, 4
	s_sub_i32 s37, 0, s42
	s_lshl_b64 s[38:39], s[14:15], 4
	s_lshl_b64 s[40:41], s[6:7], 4
	s_add_u32 s40, s38, s40
	v_lshlrev_b32_e32 v1, 4, v10
	s_addc_u32 s41, s39, s41
	s_lshl_b64 s[38:39], s[12:13], 4
	v_add3_u32 v1, s31, v1, v12
	s_mov_b32 s31, 0
	s_add_u32 s38, s40, s38
	s_addc_u32 s39, s41, s39
	s_lshl_b64 s[30:31], s[30:31], 4
	s_add_u32 s30, s42, s30
	s_addc_u32 s31, 0, s31
	s_mul_i32 s40, s30, s11
	s_mul_hi_u32 s41, s30, s10
	s_add_i32 s40, s41, s40
	s_mul_i32 s31, s31, s10
	s_add_i32 s40, s40, s31
	s_mul_i32 s30, s30, s10
	s_add_u32 s38, s38, s30
	s_addc_u32 s39, s39, s40
	s_lshl_b64 s[30:31], s[26:27], 4
	s_add_u32 s30, s38, s30
	s_addc_u32 s31, s39, s31
	s_add_u32 s30, s24, s30
	v_ashrrev_i32_e32 v11, 31, v10
	s_addc_u32 s31, s25, s31
	v_lshl_add_u64 v[2:3], v[10:11], 4, s[30:31]
	s_lshl_b64 s[30:31], s[10:11], 4
	s_sub_u32 s30, 0, s30
	s_subb_u32 s31, 0, s31
.LBB14_11:                              ; =>This Inner Loop Header: Depth=1
	global_load_dwordx4 v[4:7], v[2:3], off
	s_add_i32 s2, s2, -1
	v_lshl_add_u64 v[2:3], v[2:3], 0, s[30:31]
	s_cmp_gt_u32 s2, 1
	s_waitcnt vmcnt(0)
	ds_write2_b64 v1, v[4:5], v[6:7] offset1:1
	v_add_u32_e32 v1, s37, v1
	s_cbranch_scc1 .LBB14_11
; %bb.12:
	s_mov_b64 s[30:31], 0
.LBB14_13:
	s_and_b64 vcc, exec, s[30:31]
	s_cbranch_vccz .LBB14_16
; %bb.14:
	s_lshl_b64 s[30:31], s[6:7], 4
	s_add_u32 s2, s24, s30
	s_addc_u32 s37, s25, s31
	s_lshl_b64 s[30:31], s[26:27], 4
	s_add_u32 s2, s2, s30
	s_addc_u32 s37, s37, s31
	;; [unrolled: 3-line block ×3, first 2 shown]
	s_lshl_b64 s[30:31], s[14:15], 4
	s_add_u32 s30, s2, s30
	v_add_u32_e32 v2, s33, v10
	s_addc_u32 s31, s37, s31
	v_ashrrev_i32_e32 v3, 31, v2
	v_lshl_add_u64 v[2:3], v[2:3], 4, s[30:31]
	v_lshl_add_u32 v1, v10, 4, v12
	s_lshl_b32 s2, s33, 4
	s_lshl_b64 s[30:31], s[10:11], 4
	s_mov_b32 s37, s33
.LBB14_15:                              ; =>This Inner Loop Header: Depth=1
	global_load_dwordx4 v[4:7], v[2:3], off
	s_add_i32 s37, s37, -1
	v_lshl_add_u64 v[2:3], v[2:3], 0, s[30:31]
	s_cmp_eq_u32 s37, 0
	s_waitcnt vmcnt(0)
	ds_write2_b64 v1, v[4:5], v[6:7] offset1:1
	v_add_u32_e32 v1, s2, v1
	s_cbranch_scc0 .LBB14_15
.LBB14_16:
	s_or_b64 exec, exec, s[28:29]
.LBB14_17:
	s_andn2_saveexec_b64 s[22:23], s[22:23]
	s_cbranch_execz .LBB14_31
; %bb.18:
	v_mov_b64_e32 v[2:3], 0
	s_and_saveexec_b64 s[28:29], s[4:5]
	s_cbranch_execnz .LBB14_21
; %bb.19:
	s_or_b64 exec, exec, s[28:29]
	s_cmpk_lg_i32 s20, 0x7a
	s_mov_b64 s[28:29], -1
	s_cbranch_scc1 .LBB14_22
.LBB14_20:
	s_and_b64 vcc, exec, s[28:29]
	s_cbranch_vccnz .LBB14_27
	s_branch .LBB14_31
.LBB14_21:
	s_add_u32 s2, s10, 1
	s_addc_u32 s30, s11, 0
	s_mul_i32 s30, s30, s33
	s_mul_hi_u32 s31, s2, s33
	s_add_i32 s31, s31, s30
	s_mul_i32 s30, s2, s33
	v_mov_b64_e32 v[2:3], s[30:31]
	s_or_b64 exec, exec, s[28:29]
	s_cmpk_lg_i32 s20, 0x7a
	s_mov_b64 s[28:29], -1
	s_cbranch_scc0 .LBB14_20
.LBB14_22:
	s_add_i32 s2, s33, -1
	s_lshl_b64 s[28:29], s[14:15], 4
	s_lshl_b64 s[30:31], s[6:7], 4
	s_add_u32 s30, s28, s30
	s_addc_u32 s31, s29, s31
	s_lshl_b64 s[28:29], s[12:13], 4
	s_add_u32 s30, s30, s28
	s_addc_u32 s31, s31, s29
	s_mul_i32 s28, s11, s2
	s_mul_hi_u32 s29, s10, s2
	s_add_i32 s29, s29, s28
	s_mul_i32 s28, s10, s2
	s_lshl_b64 s[28:29], s[28:29], 4
	v_sub_u32_e32 v1, s2, v10
	s_add_u32 s2, s30, s28
	s_addc_u32 s30, s31, s29
	s_lshl_b64 s[28:29], s[26:27], 4
	s_add_u32 s28, s28, s2
	s_addc_u32 s29, s29, s30
	v_ashrrev_i32_e32 v11, 31, v10
	v_lshl_add_u64 v[4:5], v[2:3], 4, s[28:29]
	v_lshl_add_u64 v[4:5], v[10:11], 4, v[4:5]
	s_lshl_b64 s[28:29], s[10:11], 4
	v_lshl_add_u64 v[4:5], s[24:25], 0, v[4:5]
	s_sub_u32 s28, 0, s28
	v_lshl_add_u32 v1, v1, 4, v12
	v_lshl_add_u64 v[4:5], v[4:5], 0, 8
	s_subb_u32 s29, 0, s29
	s_lshl_b32 s2, s33, 4
	s_mov_b32 s37, s33
	s_branch .LBB14_24
.LBB14_23:                              ;   in Loop: Header=BB14_24 Depth=1
	s_or_b64 exec, exec, s[30:31]
	s_waitcnt vmcnt(0)
	ds_write_b128 v1, v[6:9]
	v_lshl_add_u64 v[4:5], v[4:5], 0, s[28:29]
	s_cmp_lt_i32 s37, 1
	v_add_u32_e32 v1, s2, v1
	s_cbranch_scc1 .LBB14_26
.LBB14_24:                              ; =>This Inner Loop Header: Depth=1
	s_add_i32 s37, s37, -1
	v_cmp_ge_i32_e32 vcc, s37, v10
	v_mov_b64_e32 v[6:7], 0
	v_mov_b64_e32 v[8:9], 0
	s_and_saveexec_b64 s[30:31], vcc
	s_cbranch_execz .LBB14_23
; %bb.25:                               ;   in Loop: Header=BB14_24 Depth=1
	global_load_dwordx4 v[6:9], v[4:5], off offset:-8
	s_branch .LBB14_23
.LBB14_26:
	s_branch .LBB14_31
.LBB14_27:
	s_lshl_b64 s[14:15], s[14:15], 4
	s_lshl_b64 s[6:7], s[6:7], 4
	s_add_u32 s2, s14, s6
	s_addc_u32 s14, s15, s7
	s_lshl_b64 s[6:7], s[12:13], 4
	s_add_u32 s2, s2, s6
	s_addc_u32 s12, s14, s7
	;; [unrolled: 3-line block ×3, first 2 shown]
	v_ashrrev_i32_e32 v11, 31, v10
	v_lshl_add_u64 v[2:3], v[2:3], 4, s[6:7]
	v_lshl_add_u64 v[2:3], v[10:11], 4, v[2:3]
	;; [unrolled: 1-line block ×3, first 2 shown]
	v_lshl_add_u32 v1, v10, 4, v12
	v_lshl_add_u64 v[2:3], v[2:3], 0, 8
	s_lshl_b64 s[6:7], s[10:11], 4
	s_lshl_b32 s2, s33, 4
	s_mov_b32 s12, 0
	s_branch .LBB14_29
.LBB14_28:                              ;   in Loop: Header=BB14_29 Depth=1
	s_or_b64 exec, exec, s[10:11]
	s_add_i32 s12, s12, 1
	s_waitcnt vmcnt(0)
	ds_write_b128 v1, v[4:7]
	v_lshl_add_u64 v[2:3], v[2:3], 0, s[6:7]
	s_cmp_eq_u32 s33, s12
	v_add_u32_e32 v1, s2, v1
	s_cbranch_scc1 .LBB14_31
.LBB14_29:                              ; =>This Inner Loop Header: Depth=1
	v_cmp_le_i32_e32 vcc, s12, v10
	v_mov_b64_e32 v[4:5], 0
	v_mov_b64_e32 v[6:7], 0
	s_and_saveexec_b64 s[10:11], vcc
	s_cbranch_execz .LBB14_28
; %bb.30:                               ;   in Loop: Header=BB14_29 Depth=1
	global_load_dwordx4 v[4:7], v[2:3], off offset:-8
	s_branch .LBB14_28
.LBB14_31:
	s_or_b64 exec, exec, s[22:23]
	s_waitcnt lgkmcnt(0)
	s_barrier
	s_and_saveexec_b64 s[10:11], s[8:9]
	s_cbranch_execz .LBB14_42
; %bb.32:
	s_add_i32 s2, s33, 1
	v_mul_i32_i24_e32 v1, s2, v10
	s_cmpk_eq_i32 s21, 0x84
	v_lshl_add_u32 v1, v1, 4, v12
	s_cbranch_scc1 .LBB14_40
; %bb.33:
	ds_read_b128 v[2:5], v1
	v_mov_b64_e32 v[8:9], 0
	v_mov_b64_e32 v[6:7], 1.0
	s_waitcnt lgkmcnt(0)
	v_cmp_neq_f64_e32 vcc, 0, v[2:3]
	v_cmp_neq_f64_e64 s[6:7], 0, v[4:5]
	s_or_b64 s[12:13], vcc, s[6:7]
	s_and_saveexec_b64 s[6:7], s[12:13]
	s_cbranch_execz .LBB14_39
; %bb.34:
	v_cmp_ngt_f64_e64 s[12:13], |v[2:3]|, |v[4:5]|
                                        ; implicit-def: $vgpr8_vgpr9
	s_and_saveexec_b64 s[14:15], s[12:13]
	s_xor_b64 s[12:13], exec, s[14:15]
	s_cbranch_execz .LBB14_36
; %bb.35:
	v_div_scale_f64 v[6:7], s[14:15], v[4:5], v[4:5], v[2:3]
	v_rcp_f64_e32 v[8:9], v[6:7]
	v_div_scale_f64 v[14:15], vcc, v[2:3], v[4:5], v[2:3]
	v_fma_f64 v[16:17], -v[6:7], v[8:9], 1.0
	v_fmac_f64_e32 v[8:9], v[8:9], v[16:17]
	v_fma_f64 v[16:17], -v[6:7], v[8:9], 1.0
	v_fmac_f64_e32 v[8:9], v[8:9], v[16:17]
	v_mul_f64 v[16:17], v[14:15], v[8:9]
	v_fma_f64 v[6:7], -v[6:7], v[16:17], v[14:15]
	v_div_fmas_f64 v[6:7], v[6:7], v[8:9], v[16:17]
	v_div_fixup_f64 v[6:7], v[6:7], v[4:5], v[2:3]
	v_fmac_f64_e32 v[4:5], v[2:3], v[6:7]
	v_div_scale_f64 v[2:3], s[14:15], v[4:5], v[4:5], 1.0
	v_rcp_f64_e32 v[8:9], v[2:3]
	s_nop 0
	v_fma_f64 v[14:15], -v[2:3], v[8:9], 1.0
	v_fmac_f64_e32 v[8:9], v[8:9], v[14:15]
	v_fma_f64 v[14:15], -v[2:3], v[8:9], 1.0
	v_fmac_f64_e32 v[8:9], v[8:9], v[14:15]
	v_div_scale_f64 v[14:15], vcc, 1.0, v[4:5], 1.0
	v_mul_f64 v[16:17], v[14:15], v[8:9]
	v_fma_f64 v[2:3], -v[2:3], v[16:17], v[14:15]
	s_nop 1
	v_div_fmas_f64 v[2:3], v[2:3], v[8:9], v[16:17]
	v_div_fixup_f64 v[8:9], v[2:3], v[4:5], 1.0
	v_mul_f64 v[6:7], v[6:7], v[8:9]
	v_xor_b32_e32 v9, 0x80000000, v9
                                        ; implicit-def: $vgpr2_vgpr3
.LBB14_36:
	s_andn2_saveexec_b64 s[12:13], s[12:13]
	s_cbranch_execz .LBB14_38
; %bb.37:
	v_div_scale_f64 v[6:7], s[14:15], v[2:3], v[2:3], v[4:5]
	v_rcp_f64_e32 v[8:9], v[6:7]
	v_div_scale_f64 v[14:15], vcc, v[4:5], v[2:3], v[4:5]
	v_fma_f64 v[16:17], -v[6:7], v[8:9], 1.0
	v_fmac_f64_e32 v[8:9], v[8:9], v[16:17]
	v_fma_f64 v[16:17], -v[6:7], v[8:9], 1.0
	v_fmac_f64_e32 v[8:9], v[8:9], v[16:17]
	v_mul_f64 v[16:17], v[14:15], v[8:9]
	v_fma_f64 v[6:7], -v[6:7], v[16:17], v[14:15]
	v_div_fmas_f64 v[6:7], v[6:7], v[8:9], v[16:17]
	v_div_fixup_f64 v[8:9], v[6:7], v[2:3], v[4:5]
	v_fmac_f64_e32 v[2:3], v[4:5], v[8:9]
	v_div_scale_f64 v[4:5], s[14:15], v[2:3], v[2:3], 1.0
	v_rcp_f64_e32 v[6:7], v[4:5]
	s_nop 0
	v_fma_f64 v[14:15], -v[4:5], v[6:7], 1.0
	v_fmac_f64_e32 v[6:7], v[6:7], v[14:15]
	v_fma_f64 v[14:15], -v[4:5], v[6:7], 1.0
	v_fmac_f64_e32 v[6:7], v[6:7], v[14:15]
	v_div_scale_f64 v[14:15], vcc, 1.0, v[2:3], 1.0
	v_mul_f64 v[16:17], v[14:15], v[6:7]
	v_fma_f64 v[4:5], -v[4:5], v[16:17], v[14:15]
	s_nop 1
	v_div_fmas_f64 v[4:5], v[4:5], v[6:7], v[16:17]
	v_div_fixup_f64 v[6:7], v[4:5], v[2:3], 1.0
	v_mul_f64 v[8:9], v[8:9], -v[6:7]
.LBB14_38:
	s_or_b64 exec, exec, s[12:13]
.LBB14_39:
	s_or_b64 exec, exec, s[6:7]
	s_branch .LBB14_41
.LBB14_40:
	v_mov_b64_e32 v[8:9], 0
	v_mov_b64_e32 v[6:7], 1.0
.LBB14_41:
	ds_write_b128 v1, v[6:9]
.LBB14_42:
	s_or_b64 exec, exec, s[10:11]
	s_waitcnt lgkmcnt(0)
	s_barrier
	s_and_saveexec_b64 s[6:7], s[8:9]
	s_cbranch_execz .LBB14_54
; %bb.43:
	s_add_i32 s2, s33, 1
	v_lshlrev_b32_e32 v2, 4, v10
	v_mul_i32_i24_e32 v3, s2, v10
	s_lshl_b32 s2, s33, 4
	v_add_u32_e32 v1, v12, v2
	v_lshl_add_u32 v6, v3, 4, v12
	v_add3_u32 v7, v2, s2, v12
	v_add_u32_e32 v8, 16, v12
	s_add_i32 s12, s2, 16
	s_mov_b32 s13, 0
	s_branch .LBB14_45
.LBB14_44:                              ;   in Loop: Header=BB14_45 Depth=1
	v_add_u32_e32 v7, s2, v7
	s_cmp_eq_u32 s13, s33
	v_add_u32_e32 v8, s12, v8
	s_cbranch_scc1 .LBB14_54
.LBB14_45:                              ; =>This Loop Header: Depth=1
                                        ;     Child Loop BB14_50 Depth 2
	v_cmp_lt_i32_e32 vcc, s13, v10
	v_mov_b64_e32 v[2:3], 0
	s_mul_i32 s14, s13, s33
	v_mov_b64_e32 v[4:5], 0
	s_and_saveexec_b64 s[10:11], vcc
	s_cbranch_execz .LBB14_47
; %bb.46:                               ;   in Loop: Header=BB14_45 Depth=1
	s_lshl_b32 s15, s14, 4
	s_lshl_b32 s21, s13, 4
	v_add_u32_e32 v9, s15, v1
	s_add_i32 s15, s15, s21
	v_add_u32_e32 v2, s15, v12
	ds_read_b128 v[2:5], v2
	ds_read_b128 v[14:17], v9
	s_waitcnt lgkmcnt(0)
	v_mul_f64 v[18:19], v[4:5], v[16:17]
	v_mul_f64 v[16:17], v[2:3], v[16:17]
	v_fma_f64 v[2:3], v[2:3], v[14:15], -v[18:19]
	v_fmac_f64_e32 v[16:17], v[4:5], v[14:15]
	v_add_f64 v[2:3], v[2:3], 0
	v_add_f64 v[4:5], v[16:17], 0
.LBB14_47:                              ;   in Loop: Header=BB14_45 Depth=1
	s_or_b64 exec, exec, s[10:11]
	s_add_i32 s13, s13, 1
	s_cmp_ge_u32 s13, s33
	s_cbranch_scc1 .LBB14_44
; %bb.48:                               ;   in Loop: Header=BB14_45 Depth=1
	v_lshl_add_u32 v9, s14, 4, v1
	v_mov_b32_e32 v11, v8
	v_mov_b32_e32 v13, v7
	s_mov_b32 s14, s13
	s_branch .LBB14_50
.LBB14_49:                              ;   in Loop: Header=BB14_50 Depth=2
	s_or_b64 exec, exec, s[10:11]
	s_add_i32 s14, s14, 1
	v_add_u32_e32 v13, s2, v13
	s_cmp_eq_u32 s33, s14
	v_add_u32_e32 v11, 16, v11
	s_cbranch_scc1 .LBB14_44
.LBB14_50:                              ;   Parent Loop BB14_45 Depth=1
                                        ; =>  This Inner Loop Header: Depth=2
	v_cmp_eq_u32_e32 vcc, s14, v10
	s_and_saveexec_b64 s[10:11], vcc
	s_cbranch_execz .LBB14_52
; %bb.51:                               ;   in Loop: Header=BB14_50 Depth=2
	ds_read_b128 v[14:17], v6
	v_add_f64 v[20:21], -v[2:3], 0
	s_waitcnt lgkmcnt(0)
	v_mul_f64 v[18:19], v[4:5], v[16:17]
	v_mul_f64 v[22:23], v[4:5], v[14:15]
	v_fmac_f64_e32 v[18:19], v[20:21], v[14:15]
	v_fma_f64 v[20:21], v[20:21], v[16:17], -v[22:23]
	ds_write_b128 v9, v[18:21]
.LBB14_52:                              ;   in Loop: Header=BB14_50 Depth=2
	s_or_b64 exec, exec, s[10:11]
	v_cmp_lt_i32_e32 vcc, s14, v10
	s_and_saveexec_b64 s[10:11], vcc
	s_cbranch_execz .LBB14_49
; %bb.53:                               ;   in Loop: Header=BB14_50 Depth=2
	ds_read_b128 v[14:17], v11
	ds_read_b128 v[18:21], v13
	s_waitcnt lgkmcnt(0)
	v_mul_f64 v[22:23], v[16:17], v[20:21]
	v_mul_f64 v[20:21], v[14:15], v[20:21]
	v_fma_f64 v[14:15], v[14:15], v[18:19], -v[22:23]
	v_fmac_f64_e32 v[20:21], v[16:17], v[18:19]
	v_add_f64 v[2:3], v[2:3], v[14:15]
	v_add_f64 v[4:5], v[4:5], v[20:21]
	s_branch .LBB14_49
.LBB14_54:
	s_or_b64 exec, exec, s[6:7]
	s_and_b32 s2, s33, 0xffff
	v_cvt_f32_u32_e32 v1, s2
	v_cvt_f32_ubyte0_e32 v2, v0
	s_cmpk_lg_i32 s20, 0x7a
	s_cselect_b64 s[10:11], -1, 0
	v_rcp_iflag_f32_e32 v3, v1
	s_mul_i32 s2, s33, s33
	v_cmp_gt_u32_e64 s[6:7], s2, v0
	s_waitcnt lgkmcnt(0)
	v_mul_f32_e32 v3, v2, v3
	v_trunc_f32_e32 v3, v3
	v_cvt_u32_f32_e32 v4, v3
	v_fma_f32 v2, -v3, v1, v2
	v_cmp_ge_f32_e64 vcc, |v2|, v1
	s_barrier
	s_nop 0
	v_addc_co_u32_e32 v1, vcc, 0, v4, vcc
	v_and_b32_e32 v7, 0xffff, v1
	v_mul_lo_u16_e32 v1, s33, v1
	v_sub_u16_e32 v6, v0, v1
	s_and_b64 vcc, exec, s[10:11]
	s_cbranch_vccz .LBB14_60
; %bb.55:
	s_mov_b64 s[14:15], 0
	s_mov_b64 s[12:13], 0
                                        ; implicit-def: $vgpr0_vgpr1
                                        ; implicit-def: $vgpr4
	s_and_saveexec_b64 s[20:21], s[6:7]
	s_cbranch_execz .LBB14_59
; %bb.56:
	v_lshlrev_b32_e32 v4, 8, v7
	v_lshlrev_b32_e32 v5, 4, v6
	v_sub_u32_e32 v8, 0x3ff0, v4
	v_mov_b64_e32 v[0:1], 0
	s_mov_b32 s2, -1
	v_mov_b64_e32 v[2:3], 0
.LBB14_57:                              ; =>This Inner Loop Header: Depth=1
	ds_read_b128 v[14:17], v8
	ds_read_b128 v[18:21], v5
	s_add_i32 s2, s2, 1
	v_cmp_ge_u32_e32 vcc, s2, v7
	v_add_u32_e32 v8, -16, v8
	v_add_u32_e32 v5, 0x100, v5
	s_waitcnt lgkmcnt(0)
	v_mul_f64 v[22:23], v[16:17], v[20:21]
	v_mul_f64 v[20:21], v[14:15], v[20:21]
	v_fma_f64 v[14:15], v[14:15], v[18:19], -v[22:23]
	v_fmac_f64_e32 v[20:21], v[16:17], v[18:19]
	s_or_b64 s[12:13], vcc, s[12:13]
	v_add_f64 v[2:3], v[2:3], v[14:15]
	v_add_f64 v[0:1], v[0:1], v[20:21]
	s_andn2_b64 exec, exec, s[12:13]
	s_cbranch_execnz .LBB14_57
; %bb.58:
	s_or_b64 exec, exec, s[12:13]
	v_lshl_add_u32 v5, v6, 4, v4
	s_mov_b64 s[12:13], exec
	v_add_u32_e32 v4, 0x1000, v5
	ds_write_b64 v5, v[2:3] offset:4096
.LBB14_59:
	s_or_b64 exec, exec, s[20:21]
	s_and_b64 vcc, exec, s[14:15]
	s_cbranch_vccnz .LBB14_61
	s_branch .LBB14_70
.LBB14_60:
	s_mov_b64 s[12:13], 0
                                        ; implicit-def: $vgpr0_vgpr1
                                        ; implicit-def: $vgpr4
	s_cbranch_execz .LBB14_70
.LBB14_61:
                                        ; implicit-def: $vgpr0_vgpr1
                                        ; implicit-def: $vgpr4
	s_and_saveexec_b64 s[14:15], s[6:7]
	s_cbranch_execz .LBB14_69
; %bb.62:
	v_cmp_lt_u16_e32 vcc, 15, v7
	v_lshlrev_b32_e32 v4, 8, v7
	s_and_saveexec_b64 s[20:21], vcc
	s_xor_b64 s[20:21], exec, s[20:21]
; %bb.63:
	v_lshlrev_b32_e32 v4, 8, v7
; %bb.64:
	s_or_saveexec_b64 s[20:21], s[20:21]
	v_mov_b64_e32 v[0:1], 0
	v_mov_b64_e32 v[2:3], 0
	s_xor_b64 exec, exec, s[20:21]
	s_cbranch_execz .LBB14_68
; %bb.65:
	s_movk_i32 s2, 0x110
	v_mov_b32_e32 v0, 0x2000
	v_add_u32_e32 v5, -1, v7
	v_mad_u32_u24 v8, v7, s2, v0
	v_lshl_add_u32 v9, v6, 4, v4
	v_mov_b64_e32 v[0:1], 0
	s_mov_b64 s[22:23], 0
	v_mov_b64_e32 v[2:3], 0
.LBB14_66:                              ; =>This Inner Loop Header: Depth=1
	ds_read_b128 v[14:17], v8
	ds_read_b128 v[18:21], v9
	v_add_u32_e32 v5, 1, v5
	v_cmp_lt_u32_e32 vcc, 14, v5
	v_add_u32_e32 v8, 16, v8
	v_add_u32_e32 v9, 0x100, v9
	s_waitcnt lgkmcnt(0)
	v_mul_f64 v[22:23], v[16:17], v[20:21]
	v_mul_f64 v[20:21], v[14:15], v[20:21]
	v_fma_f64 v[14:15], v[14:15], v[18:19], -v[22:23]
	v_fmac_f64_e32 v[20:21], v[16:17], v[18:19]
	s_or_b64 s[22:23], vcc, s[22:23]
	v_add_f64 v[2:3], v[2:3], v[14:15]
	v_add_f64 v[0:1], v[0:1], v[20:21]
	s_andn2_b64 exec, exec, s[22:23]
	s_cbranch_execnz .LBB14_66
; %bb.67:
	s_or_b64 exec, exec, s[22:23]
.LBB14_68:
	s_or_b64 exec, exec, s[20:21]
	v_lshl_add_u32 v5, v6, 4, v4
	v_add_u32_e32 v4, 0x1000, v5
	ds_write_b64 v5, v[2:3] offset:4096
	s_or_b64 s[12:13], s[12:13], exec
.LBB14_69:
	s_or_b64 exec, exec, s[14:15]
.LBB14_70:
	s_and_saveexec_b64 s[14:15], s[12:13]
; %bb.71:
	ds_write_b64 v4, v[0:1] offset:8
; %bb.72:
	s_or_b64 exec, exec, s[14:15]
	s_load_dword s12, s[0:1], 0x48
	s_load_dwordx4 s[20:23], s[0:1], 0x50
	s_waitcnt lgkmcnt(0)
	s_barrier
	s_ashr_i32 s13, s12, 31
	s_mul_i32 s1, s21, s3
	s_mul_hi_u32 s2, s20, s3
	s_mul_i32 s0, s20, s3
	s_add_i32 s1, s2, s1
	s_lshl_b64 s[14:15], s[0:1], 4
	s_add_u32 s0, s16, s14
	s_addc_u32 s1, s17, s15
	s_lshl_b64 s[2:3], s[18:19], 4
	s_add_u32 s20, s0, s2
	s_addc_u32 s21, s1, s3
	;; [unrolled: 3-line block ×3, first 2 shown]
	s_mul_i32 s1, s1, s36
	s_mul_hi_u32 s18, s0, s36
	s_add_i32 s1, s18, s1
	s_mul_i32 s0, s0, s36
	s_lshl_b64 s[18:19], s[0:1], 4
	s_add_u32 s24, s20, s18
	s_mul_i32 s0, s23, s35
	s_mul_hi_u32 s1, s22, s35
	s_addc_u32 s25, s21, s19
	s_add_i32 s1, s1, s0
	s_mul_i32 s0, s22, s35
	s_lshl_b64 s[20:21], s[0:1], 4
	s_add_u32 s0, s24, s20
	s_addc_u32 s1, s25, s21
	s_and_b64 vcc, exec, s[10:11]
	s_cbranch_vccz .LBB14_78
; %bb.73:
	s_mov_b64 s[24:25], 0
	s_mov_b64 s[22:23], 0
                                        ; implicit-def: $vgpr0_vgpr1
                                        ; implicit-def: $vgpr2_vgpr3
	s_and_saveexec_b64 s[26:27], s[6:7]
	s_cbranch_execz .LBB14_77
; %bb.74:
	v_mul_u32_u24_e32 v0, s33, v7
	v_lshlrev_b32_e32 v0, 4, v0
	v_lshlrev_b32_e32 v2, 4, v6
	s_movk_i32 s22, 0x1000
	v_add3_u32 v8, v0, v2, s22
	s_lshl_b32 s22, s33, 4
	v_sub_u32_e32 v0, s22, v2
	v_mul_i32_i24_e32 v0, s33, v0
	v_sub_u32_e32 v0, v0, v2
	v_add_u32_e32 v3, -1, v6
	v_add_u32_e32 v9, 0x1ff0, v0
	s_sub_i32 s28, 0, s22
	v_mov_b64_e32 v[4:5], 0
	s_mov_b64 s[22:23], 0
	v_mov_b64_e32 v[0:1], 0
.LBB14_75:                              ; =>This Inner Loop Header: Depth=1
	ds_read_b128 v[14:17], v9
	ds_read_b128 v[18:21], v8
	v_add_u32_e32 v3, 1, v3
	v_cmp_lt_u32_e32 vcc, 14, v3
	v_add_u32_e32 v8, 16, v8
	v_add_u32_e32 v9, s28, v9
	s_waitcnt lgkmcnt(0)
	v_mul_f64 v[22:23], v[14:15], v[18:19]
	v_mul_f64 v[14:15], v[14:15], v[20:21]
	v_fma_f64 v[20:21], v[16:17], v[20:21], -v[22:23]
	v_fma_f64 v[14:15], v[18:19], -v[16:17], -v[14:15]
	s_or_b64 s[22:23], vcc, s[22:23]
	v_add_f64 v[4:5], v[4:5], v[20:21]
	v_add_f64 v[0:1], v[0:1], v[14:15]
	s_andn2_b64 exec, exec, s[22:23]
	s_cbranch_execnz .LBB14_75
; %bb.76:
	s_or_b64 exec, exec, s[22:23]
	s_mul_hi_i32 s29, s33, s12
	s_mul_i32 s28, s33, s12
	s_lshl_b64 s[28:29], s[28:29], 4
	s_add_u32 s28, s0, s28
	s_addc_u32 s29, s1, s29
	v_mov_b32_e32 v3, 0
	v_mad_i64_i32 v[8:9], s[30:31], v7, s12, 0
	v_lshl_add_u64 v[2:3], s[28:29], 0, v[2:3]
	s_mov_b64 s[22:23], exec
	v_lshl_add_u64 v[2:3], v[8:9], 4, v[2:3]
	global_store_dwordx2 v[2:3], v[4:5], off
.LBB14_77:
	s_or_b64 exec, exec, s[26:27]
	s_and_b64 vcc, exec, s[24:25]
	s_cbranch_vccnz .LBB14_79
	s_branch .LBB14_84
.LBB14_78:
	s_mov_b64 s[22:23], 0
                                        ; implicit-def: $vgpr0_vgpr1
                                        ; implicit-def: $vgpr2_vgpr3
	s_cbranch_execz .LBB14_84
.LBB14_79:
                                        ; implicit-def: $vgpr0_vgpr1
                                        ; implicit-def: $vgpr2_vgpr3
	s_and_saveexec_b64 s[24:25], s[6:7]
	s_cbranch_execz .LBB14_83
; %bb.80:
	v_mov_b32_e32 v0, 0x3000
	v_lshl_add_u32 v2, v6, 4, v0
	v_mul_u32_u24_e32 v0, s33, v7
	v_mov_b32_e32 v1, 0x1000
	v_lshl_add_u32 v3, v0, 4, v1
	s_lshl_b32 s26, s33, 4
	v_mov_b64_e32 v[4:5], 0
	s_mov_b32 s27, -1
	s_mov_b64 s[6:7], 0
	v_mov_b64_e32 v[0:1], 0
.LBB14_81:                              ; =>This Inner Loop Header: Depth=1
	ds_read_b128 v[14:17], v2
	ds_read_b128 v[18:21], v3
	s_add_i32 s27, s27, 1
	v_cmp_ge_u32_e32 vcc, s27, v6
	v_add_u32_e32 v3, 16, v3
	v_add_u32_e32 v2, s26, v2
	s_waitcnt lgkmcnt(0)
	v_mul_f64 v[8:9], v[14:15], v[18:19]
	v_mul_f64 v[14:15], v[14:15], v[20:21]
	v_fma_f64 v[8:9], v[16:17], v[20:21], -v[8:9]
	v_fma_f64 v[14:15], v[18:19], -v[16:17], -v[14:15]
	s_or_b64 s[6:7], vcc, s[6:7]
	v_add_f64 v[4:5], v[4:5], v[8:9]
	v_add_f64 v[0:1], v[0:1], v[14:15]
	s_andn2_b64 exec, exec, s[6:7]
	s_cbranch_execnz .LBB14_81
; %bb.82:
	s_or_b64 exec, exec, s[6:7]
	v_mad_i64_i32 v[2:3], s[6:7], v7, s12, 0
	v_lshl_add_u64 v[2:3], v[2:3], 4, s[0:1]
	v_add_lshl_u32 v6, s33, v6, 4
	v_mov_b32_e32 v7, 0
	v_lshl_add_u64 v[2:3], v[2:3], 0, v[6:7]
	s_or_b64 s[22:23], s[22:23], exec
	global_store_dwordx2 v[2:3], v[4:5], off
.LBB14_83:
	s_or_b64 exec, exec, s[24:25]
.LBB14_84:
	s_and_saveexec_b64 s[6:7], s[22:23]
	s_cbranch_execz .LBB14_86
; %bb.85:
	global_store_dwordx2 v[2:3], v[0:1], off offset:8
.LBB14_86:
	s_or_b64 exec, exec, s[6:7]
	s_and_saveexec_b64 s[6:7], s[8:9]
	s_cbranch_execz .LBB14_98
; %bb.87:
	v_mov_b64_e32 v[0:1], 0
	s_and_saveexec_b64 s[6:7], s[4:5]
	s_cbranch_execnz .LBB14_90
; %bb.88:
	s_or_b64 exec, exec, s[6:7]
	s_mov_b64 s[4:5], -1
	s_and_b64 vcc, exec, s[10:11]
	s_cbranch_vccnz .LBB14_91
.LBB14_89:
	s_andn2_b64 vcc, exec, s[4:5]
	s_cbranch_vccz .LBB14_95
	s_branch .LBB14_98
.LBB14_90:
	s_add_u32 s4, s12, 1
	s_addc_u32 s5, s13, 0
	s_mul_i32 s5, s5, s33
	s_mul_hi_u32 s8, s4, s33
	s_add_i32 s5, s8, s5
	s_mul_i32 s4, s4, s33
	v_mov_b64_e32 v[0:1], s[4:5]
	s_or_b64 exec, exec, s[6:7]
	s_mov_b64 s[4:5], -1
	s_and_b64 vcc, exec, s[10:11]
	s_cbranch_vccz .LBB14_89
.LBB14_91:
	v_cmp_gt_i32_e32 vcc, s33, v10
	s_and_saveexec_b64 s[4:5], vcc
	s_cbranch_execz .LBB14_94
; %bb.92:
	s_cmp_lt_u32 s34, 16
	s_cselect_b32 s7, s34, 16
	s_cselect_b32 s6, 0, 0
	s_add_u32 s8, s7, -1
	s_addc_u32 s6, s6, -1
	s_mul_i32 s7, s8, s13
	s_mul_hi_u32 s9, s8, s12
	s_add_i32 s7, s9, s7
	s_mul_i32 s6, s6, s12
	s_add_i32 s7, s7, s6
	s_mul_i32 s6, s8, s12
	s_lshl_b64 s[6:7], s[6:7], 4
	s_add_u32 s6, s6, s20
	s_addc_u32 s7, s7, s21
	s_add_u32 s6, s6, s14
	s_addc_u32 s7, s7, s15
	;; [unrolled: 2-line block ×3, first 2 shown]
	s_add_u32 s2, s2, s6
	v_xad_u32 v2, v10, -1, s33
	s_addc_u32 s3, s3, s7
	v_lshl_add_u32 v4, v2, 4, v12
	v_ashrrev_i32_e32 v11, 31, v10
	v_lshl_add_u64 v[2:3], v[0:1], 4, s[2:3]
	s_lshl_b64 s[6:7], s[12:13], 4
	v_lshl_add_u64 v[2:3], v[10:11], 4, v[2:3]
	s_sub_u32 s6, 0, s6
	v_lshl_add_u64 v[2:3], s[16:17], 0, v[2:3]
	s_mov_b64 s[2:3], 0
	s_subb_u32 s7, 0, s7
	s_lshl_b32 s8, s33, 4
	s_mov_b32 s9, s33
.LBB14_93:                              ; =>This Inner Loop Header: Depth=1
	ds_read2_b64 v[6:9], v4 offset1:1
	s_add_i32 s9, s9, -1
	v_cmp_le_i32_e32 vcc, s9, v10
	v_add_u32_e32 v4, s8, v4
	s_or_b64 s[2:3], vcc, s[2:3]
	s_waitcnt lgkmcnt(0)
	global_store_dwordx4 v[2:3], v[6:9], off
	v_lshl_add_u64 v[2:3], v[2:3], 0, s[6:7]
	s_andn2_b64 exec, exec, s[2:3]
	s_cbranch_execnz .LBB14_93
.LBB14_94:
	s_or_b64 exec, exec, s[4:5]
	s_cbranch_execnz .LBB14_98
.LBB14_95:
	v_cmp_lt_i32_e32 vcc, -1, v10
	s_and_b64 exec, exec, vcc
	s_cbranch_execz .LBB14_98
; %bb.96:
	v_mov_b32_e32 v11, 0
	v_lshl_add_u64 v[0:1], v[0:1], 4, s[0:1]
	v_lshl_add_u32 v2, v10, 4, v12
	v_lshl_add_u64 v[0:1], v[10:11], 4, v[0:1]
	v_add_u32_e32 v3, 1, v10
	s_lshl_b64 s[0:1], s[12:13], 4
	s_lshl_b32 s4, s33, 4
	s_mov_b64 s[2:3], 0
.LBB14_97:                              ; =>This Inner Loop Header: Depth=1
	ds_read2_b64 v[4:7], v2 offset1:1
	v_add_u32_e32 v3, -1, v3
	v_cmp_eq_u32_e32 vcc, 0, v3
	v_add_u32_e32 v2, s4, v2
	s_or_b64 s[2:3], vcc, s[2:3]
	s_waitcnt lgkmcnt(0)
	global_store_dwordx4 v[0:1], v[4:7], off
	v_lshl_add_u64 v[0:1], v[0:1], 0, s[0:1]
	s_andn2_b64 exec, exec, s[2:3]
	s_cbranch_execnz .LBB14_97
.LBB14_98:
	s_endpgm
	.section	.rodata,"a",@progbits
	.p2align	6, 0x0
	.amdhsa_kernel _ZL29rocblas_trtri_diagonal_kernelILi16E19rocblas_complex_numIdEPKS1_PS1_Ev13rocblas_fill_17rocblas_diagonal_iT1_lillT2_lilli
		.amdhsa_group_segment_fixed_size 16384
		.amdhsa_private_segment_fixed_size 0
		.amdhsa_kernarg_size 100
		.amdhsa_user_sgpr_count 2
		.amdhsa_user_sgpr_dispatch_ptr 0
		.amdhsa_user_sgpr_queue_ptr 0
		.amdhsa_user_sgpr_kernarg_segment_ptr 1
		.amdhsa_user_sgpr_dispatch_id 0
		.amdhsa_user_sgpr_kernarg_preload_length 0
		.amdhsa_user_sgpr_kernarg_preload_offset 0
		.amdhsa_user_sgpr_private_segment_size 0
		.amdhsa_uses_dynamic_stack 0
		.amdhsa_enable_private_segment 0
		.amdhsa_system_sgpr_workgroup_id_x 1
		.amdhsa_system_sgpr_workgroup_id_y 0
		.amdhsa_system_sgpr_workgroup_id_z 1
		.amdhsa_system_sgpr_workgroup_info 0
		.amdhsa_system_vgpr_workitem_id 0
		.amdhsa_next_free_vgpr 24
		.amdhsa_next_free_sgpr 43
		.amdhsa_accum_offset 24
		.amdhsa_reserve_vcc 1
		.amdhsa_float_round_mode_32 0
		.amdhsa_float_round_mode_16_64 0
		.amdhsa_float_denorm_mode_32 3
		.amdhsa_float_denorm_mode_16_64 3
		.amdhsa_dx10_clamp 1
		.amdhsa_ieee_mode 1
		.amdhsa_fp16_overflow 0
		.amdhsa_tg_split 0
		.amdhsa_exception_fp_ieee_invalid_op 0
		.amdhsa_exception_fp_denorm_src 0
		.amdhsa_exception_fp_ieee_div_zero 0
		.amdhsa_exception_fp_ieee_overflow 0
		.amdhsa_exception_fp_ieee_underflow 0
		.amdhsa_exception_fp_ieee_inexact 0
		.amdhsa_exception_int_div_zero 0
	.end_amdhsa_kernel
	.section	.text._ZL29rocblas_trtri_diagonal_kernelILi16E19rocblas_complex_numIdEPKS1_PS1_Ev13rocblas_fill_17rocblas_diagonal_iT1_lillT2_lilli,"axG",@progbits,_ZL29rocblas_trtri_diagonal_kernelILi16E19rocblas_complex_numIdEPKS1_PS1_Ev13rocblas_fill_17rocblas_diagonal_iT1_lillT2_lilli,comdat
.Lfunc_end14:
	.size	_ZL29rocblas_trtri_diagonal_kernelILi16E19rocblas_complex_numIdEPKS1_PS1_Ev13rocblas_fill_17rocblas_diagonal_iT1_lillT2_lilli, .Lfunc_end14-_ZL29rocblas_trtri_diagonal_kernelILi16E19rocblas_complex_numIdEPKS1_PS1_Ev13rocblas_fill_17rocblas_diagonal_iT1_lillT2_lilli
                                        ; -- End function
	.set _ZL29rocblas_trtri_diagonal_kernelILi16E19rocblas_complex_numIdEPKS1_PS1_Ev13rocblas_fill_17rocblas_diagonal_iT1_lillT2_lilli.num_vgpr, 24
	.set _ZL29rocblas_trtri_diagonal_kernelILi16E19rocblas_complex_numIdEPKS1_PS1_Ev13rocblas_fill_17rocblas_diagonal_iT1_lillT2_lilli.num_agpr, 0
	.set _ZL29rocblas_trtri_diagonal_kernelILi16E19rocblas_complex_numIdEPKS1_PS1_Ev13rocblas_fill_17rocblas_diagonal_iT1_lillT2_lilli.numbered_sgpr, 43
	.set _ZL29rocblas_trtri_diagonal_kernelILi16E19rocblas_complex_numIdEPKS1_PS1_Ev13rocblas_fill_17rocblas_diagonal_iT1_lillT2_lilli.num_named_barrier, 0
	.set _ZL29rocblas_trtri_diagonal_kernelILi16E19rocblas_complex_numIdEPKS1_PS1_Ev13rocblas_fill_17rocblas_diagonal_iT1_lillT2_lilli.private_seg_size, 0
	.set _ZL29rocblas_trtri_diagonal_kernelILi16E19rocblas_complex_numIdEPKS1_PS1_Ev13rocblas_fill_17rocblas_diagonal_iT1_lillT2_lilli.uses_vcc, 1
	.set _ZL29rocblas_trtri_diagonal_kernelILi16E19rocblas_complex_numIdEPKS1_PS1_Ev13rocblas_fill_17rocblas_diagonal_iT1_lillT2_lilli.uses_flat_scratch, 0
	.set _ZL29rocblas_trtri_diagonal_kernelILi16E19rocblas_complex_numIdEPKS1_PS1_Ev13rocblas_fill_17rocblas_diagonal_iT1_lillT2_lilli.has_dyn_sized_stack, 0
	.set _ZL29rocblas_trtri_diagonal_kernelILi16E19rocblas_complex_numIdEPKS1_PS1_Ev13rocblas_fill_17rocblas_diagonal_iT1_lillT2_lilli.has_recursion, 0
	.set _ZL29rocblas_trtri_diagonal_kernelILi16E19rocblas_complex_numIdEPKS1_PS1_Ev13rocblas_fill_17rocblas_diagonal_iT1_lillT2_lilli.has_indirect_call, 0
	.section	.AMDGPU.csdata,"",@progbits
; Kernel info:
; codeLenInByte = 3744
; TotalNumSgprs: 49
; NumVgprs: 24
; NumAgprs: 0
; TotalNumVgprs: 24
; ScratchSize: 0
; MemoryBound: 1
; FloatMode: 240
; IeeeMode: 1
; LDSByteSize: 16384 bytes/workgroup (compile time only)
; SGPRBlocks: 6
; VGPRBlocks: 2
; NumSGPRsForWavesPerEU: 49
; NumVGPRsForWavesPerEU: 24
; AccumOffset: 24
; Occupancy: 8
; WaveLimiterHint : 0
; COMPUTE_PGM_RSRC2:SCRATCH_EN: 0
; COMPUTE_PGM_RSRC2:USER_SGPR: 2
; COMPUTE_PGM_RSRC2:TRAP_HANDLER: 0
; COMPUTE_PGM_RSRC2:TGID_X_EN: 1
; COMPUTE_PGM_RSRC2:TGID_Y_EN: 0
; COMPUTE_PGM_RSRC2:TGID_Z_EN: 1
; COMPUTE_PGM_RSRC2:TIDIG_COMP_CNT: 0
; COMPUTE_PGM_RSRC3_GFX90A:ACCUM_OFFSET: 5
; COMPUTE_PGM_RSRC3_GFX90A:TG_SPLIT: 0
	.section	.text._ZL30rocblas_trtri_remainder_kernelILi16E19rocblas_complex_numIdEPKS1_PS1_Ev13rocblas_fill_17rocblas_diagonal_iT1_lillT2_lilli,"axG",@progbits,_ZL30rocblas_trtri_remainder_kernelILi16E19rocblas_complex_numIdEPKS1_PS1_Ev13rocblas_fill_17rocblas_diagonal_iT1_lillT2_lilli,comdat
	.globl	_ZL30rocblas_trtri_remainder_kernelILi16E19rocblas_complex_numIdEPKS1_PS1_Ev13rocblas_fill_17rocblas_diagonal_iT1_lillT2_lilli ; -- Begin function _ZL30rocblas_trtri_remainder_kernelILi16E19rocblas_complex_numIdEPKS1_PS1_Ev13rocblas_fill_17rocblas_diagonal_iT1_lillT2_lilli
	.p2align	8
	.type	_ZL30rocblas_trtri_remainder_kernelILi16E19rocblas_complex_numIdEPKS1_PS1_Ev13rocblas_fill_17rocblas_diagonal_iT1_lillT2_lilli,@function
_ZL30rocblas_trtri_remainder_kernelILi16E19rocblas_complex_numIdEPKS1_PS1_Ev13rocblas_fill_17rocblas_diagonal_iT1_lillT2_lilli: ; @_ZL30rocblas_trtri_remainder_kernelILi16E19rocblas_complex_numIdEPKS1_PS1_Ev13rocblas_fill_17rocblas_diagonal_iT1_lillT2_lilli
; %bb.0:
	s_load_dwordx4 s[16:19], s[0:1], 0x0
	s_waitcnt lgkmcnt(0)
	s_cmp_lt_i32 s18, 1
	s_cbranch_scc1 .LBB15_41
; %bb.1:
	s_load_dwordx8 s[8:15], s[0:1], 0x28
	v_cmp_le_u32_e64 s[4:5], s18, v0
	v_cmp_gt_u32_e64 s[6:7], s18, v0
	s_and_saveexec_b64 s[24:25], s[6:7]
	s_cbranch_execz .LBB15_9
; %bb.2:
	s_load_dwordx4 s[20:23], s[0:1], 0x10
	s_load_dword s26, s[0:1], 0x20
	s_waitcnt lgkmcnt(0)
	s_mul_i32 s9, s9, s3
	s_mul_hi_u32 s19, s8, s3
	s_add_i32 s9, s19, s9
	s_mul_i32 s11, s11, s2
	s_mul_hi_u32 s19, s10, s2
	s_add_i32 s11, s19, s11
	s_mul_i32 s8, s8, s3
	s_mul_i32 s10, s10, s2
	s_cmpk_lg_i32 s16, 0x7a
	s_mov_b64 s[28:29], -1
	s_cbranch_scc0 .LBB15_6
; %bb.3:
	s_add_i32 s33, s18, -1
	s_ashr_i32 s27, s26, 31
	s_lshl_b32 s19, s18, 4
	s_lshl_b64 s[28:29], s[10:11], 4
	s_lshl_b64 s[30:31], s[8:9], 4
	s_add_u32 s30, s28, s30
	s_addc_u32 s31, s29, s31
	s_mul_i32 s28, s27, s33
	s_mul_hi_u32 s29, s26, s33
	s_add_i32 s29, s29, s28
	s_mul_i32 s28, s26, s33
	s_lshl_b64 s[28:29], s[28:29], 4
	s_add_u32 s30, s30, s28
	s_addc_u32 s31, s31, s29
	s_lshl_b64 s[28:29], s[22:23], 4
	s_add_u32 s28, s30, s28
	s_addc_u32 s29, s31, s29
	s_add_u32 s28, s20, s28
	s_addc_u32 s29, s21, s29
	s_lshl_b64 s[30:31], s[26:27], 4
	v_sub_u32_e32 v1, s33, v0
	v_lshlrev_b32_e32 v2, 4, v0
	v_mov_b32_e32 v3, 0
	s_sub_u32 s30, 0, s30
	v_lshlrev_b32_e32 v1, 4, v1
	v_lshl_add_u64 v[2:3], s[28:29], 0, v[2:3]
	s_mov_b64 s[28:29], 0
	s_subb_u32 s31, 0, s31
	s_mov_b32 s27, s18
.LBB15_4:                               ; =>This Inner Loop Header: Depth=1
	global_load_dwordx4 v[4:7], v[2:3], off
	s_add_i32 s27, s27, -1
	v_cmp_le_u32_e32 vcc, s27, v0
	v_lshl_add_u64 v[2:3], v[2:3], 0, s[30:31]
	s_or_b64 s[28:29], vcc, s[28:29]
	s_waitcnt vmcnt(0)
	ds_write2_b64 v1, v[4:5], v[6:7] offset1:1
	v_add_u32_e32 v1, s19, v1
	s_andn2_b64 exec, exec, s[28:29]
	s_cbranch_execnz .LBB15_4
; %bb.5:
	s_or_b64 exec, exec, s[28:29]
	s_mov_b64 s[28:29], 0
.LBB15_6:
	s_and_b64 vcc, exec, s[28:29]
	s_cbranch_vccz .LBB15_9
; %bb.7:
	s_lshl_b64 s[8:9], s[8:9], 4
	s_add_u32 s19, s20, s8
	s_addc_u32 s20, s21, s9
	s_lshl_b64 s[8:9], s[22:23], 4
	s_add_u32 s19, s19, s8
	s_addc_u32 s20, s20, s9
	s_lshl_b64 s[8:9], s[10:11], 4
	s_add_u32 s8, s19, s8
	s_addc_u32 s9, s20, s9
	s_ashr_i32 s27, s26, 31
	v_lshlrev_b32_e32 v2, 4, v0
	v_mov_b32_e32 v3, 0
	v_lshl_add_u64 v[4:5], s[8:9], 0, v[2:3]
	v_add_u32_e32 v1, 1, v0
	s_lshl_b32 s19, s18, 4
	s_lshl_b64 s[8:9], s[26:27], 4
	s_mov_b64 s[10:11], 0
.LBB15_8:                               ; =>This Inner Loop Header: Depth=1
	global_load_dwordx4 v[6:9], v[4:5], off
	v_add_u32_e32 v1, -1, v1
	v_cmp_eq_u32_e32 vcc, 0, v1
	v_lshl_add_u64 v[4:5], v[4:5], 0, s[8:9]
	s_or_b64 s[10:11], vcc, s[10:11]
	s_waitcnt vmcnt(0)
	ds_write2_b64 v2, v[6:7], v[8:9] offset1:1
	v_add_u32_e32 v2, s19, v2
	s_andn2_b64 exec, exec, s[10:11]
	s_cbranch_execnz .LBB15_8
.LBB15_9:
	s_or_b64 exec, exec, s[24:25]
	s_waitcnt lgkmcnt(0)
	s_barrier
                                        ; implicit-def: $vgpr10
	s_and_saveexec_b64 s[8:9], s[4:5]
	s_xor_b64 s[4:5], exec, s[8:9]
; %bb.10:
	v_mad_u64_u32 v[10:11], s[8:9], v0, s18, v[0:1]
; %bb.11:
	s_andn2_saveexec_b64 s[8:9], s[4:5]
	s_cbranch_execz .LBB15_22
; %bb.12:
	v_mad_u64_u32 v[10:11], s[4:5], v0, s18, v[0:1]
	s_cmpk_eq_i32 s17, 0x84
	v_lshlrev_b32_e32 v1, 4, v10
	s_cbranch_scc1 .LBB15_20
; %bb.13:
	ds_read_b128 v[2:5], v1
	v_mov_b64_e32 v[8:9], 0
	v_mov_b64_e32 v[6:7], 1.0
	s_waitcnt lgkmcnt(0)
	v_cmp_neq_f64_e32 vcc, 0, v[2:3]
	v_cmp_neq_f64_e64 s[4:5], 0, v[4:5]
	s_or_b64 s[10:11], vcc, s[4:5]
	s_and_saveexec_b64 s[4:5], s[10:11]
	s_cbranch_execz .LBB15_19
; %bb.14:
	v_cmp_ngt_f64_e64 s[10:11], |v[2:3]|, |v[4:5]|
                                        ; implicit-def: $vgpr8_vgpr9
	s_and_saveexec_b64 s[20:21], s[10:11]
	s_xor_b64 s[10:11], exec, s[20:21]
	s_cbranch_execz .LBB15_16
; %bb.15:
	v_div_scale_f64 v[6:7], s[20:21], v[4:5], v[4:5], v[2:3]
	v_rcp_f64_e32 v[8:9], v[6:7]
	v_div_scale_f64 v[12:13], vcc, v[2:3], v[4:5], v[2:3]
	v_fma_f64 v[14:15], -v[6:7], v[8:9], 1.0
	v_fmac_f64_e32 v[8:9], v[8:9], v[14:15]
	v_fma_f64 v[14:15], -v[6:7], v[8:9], 1.0
	v_fmac_f64_e32 v[8:9], v[8:9], v[14:15]
	v_mul_f64 v[14:15], v[12:13], v[8:9]
	v_fma_f64 v[6:7], -v[6:7], v[14:15], v[12:13]
	v_div_fmas_f64 v[6:7], v[6:7], v[8:9], v[14:15]
	v_div_fixup_f64 v[6:7], v[6:7], v[4:5], v[2:3]
	v_fmac_f64_e32 v[4:5], v[2:3], v[6:7]
	v_div_scale_f64 v[2:3], s[20:21], v[4:5], v[4:5], 1.0
	v_rcp_f64_e32 v[8:9], v[2:3]
	s_nop 0
	v_fma_f64 v[12:13], -v[2:3], v[8:9], 1.0
	v_fmac_f64_e32 v[8:9], v[8:9], v[12:13]
	v_fma_f64 v[12:13], -v[2:3], v[8:9], 1.0
	v_fmac_f64_e32 v[8:9], v[8:9], v[12:13]
	v_div_scale_f64 v[12:13], vcc, 1.0, v[4:5], 1.0
	v_mul_f64 v[14:15], v[12:13], v[8:9]
	v_fma_f64 v[2:3], -v[2:3], v[14:15], v[12:13]
	s_nop 1
	v_div_fmas_f64 v[2:3], v[2:3], v[8:9], v[14:15]
	v_div_fixup_f64 v[8:9], v[2:3], v[4:5], 1.0
	v_mul_f64 v[6:7], v[6:7], v[8:9]
	v_xor_b32_e32 v9, 0x80000000, v9
                                        ; implicit-def: $vgpr2_vgpr3
.LBB15_16:
	s_andn2_saveexec_b64 s[10:11], s[10:11]
	s_cbranch_execz .LBB15_18
; %bb.17:
	v_div_scale_f64 v[6:7], s[20:21], v[2:3], v[2:3], v[4:5]
	v_rcp_f64_e32 v[8:9], v[6:7]
	v_div_scale_f64 v[12:13], vcc, v[4:5], v[2:3], v[4:5]
	v_fma_f64 v[14:15], -v[6:7], v[8:9], 1.0
	v_fmac_f64_e32 v[8:9], v[8:9], v[14:15]
	v_fma_f64 v[14:15], -v[6:7], v[8:9], 1.0
	v_fmac_f64_e32 v[8:9], v[8:9], v[14:15]
	v_mul_f64 v[14:15], v[12:13], v[8:9]
	v_fma_f64 v[6:7], -v[6:7], v[14:15], v[12:13]
	v_div_fmas_f64 v[6:7], v[6:7], v[8:9], v[14:15]
	v_div_fixup_f64 v[8:9], v[6:7], v[2:3], v[4:5]
	v_fmac_f64_e32 v[2:3], v[4:5], v[8:9]
	v_div_scale_f64 v[4:5], s[20:21], v[2:3], v[2:3], 1.0
	v_rcp_f64_e32 v[6:7], v[4:5]
	s_nop 0
	v_fma_f64 v[12:13], -v[4:5], v[6:7], 1.0
	v_fmac_f64_e32 v[6:7], v[6:7], v[12:13]
	v_fma_f64 v[12:13], -v[4:5], v[6:7], 1.0
	v_fmac_f64_e32 v[6:7], v[6:7], v[12:13]
	v_div_scale_f64 v[12:13], vcc, 1.0, v[2:3], 1.0
	v_mul_f64 v[14:15], v[12:13], v[6:7]
	v_fma_f64 v[4:5], -v[4:5], v[14:15], v[12:13]
	s_nop 1
	v_div_fmas_f64 v[4:5], v[4:5], v[6:7], v[14:15]
	v_div_fixup_f64 v[6:7], v[4:5], v[2:3], 1.0
	v_mul_f64 v[8:9], v[8:9], -v[6:7]
.LBB15_18:
	s_or_b64 exec, exec, s[10:11]
.LBB15_19:
	s_or_b64 exec, exec, s[4:5]
	s_branch .LBB15_21
.LBB15_20:
	v_mov_b64_e32 v[8:9], 0
	v_mov_b64_e32 v[6:7], 1.0
.LBB15_21:
	ds_write_b128 v1, v[6:9]
.LBB15_22:
	s_or_b64 exec, exec, s[8:9]
	v_lshlrev_b32_e32 v1, 4, v0
	s_lshl_b32 s10, s18, 4
	v_lshlrev_b32_e32 v6, 4, v10
	v_add_u32_e32 v7, s10, v1
	s_mov_b32 s8, 16
	s_add_i32 s9, s10, 16
	s_mov_b32 s11, 0
	s_waitcnt lgkmcnt(0)
	s_barrier
	s_branch .LBB15_24
.LBB15_23:                              ;   in Loop: Header=BB15_24 Depth=1
	s_add_i32 s8, s8, s9
	s_cmp_eq_u32 s11, s18
	v_add_u32_e32 v7, s10, v7
	s_barrier
	s_cbranch_scc1 .LBB15_33
.LBB15_24:                              ; =>This Loop Header: Depth=1
                                        ;     Child Loop BB15_29 Depth 2
	v_cmp_lt_u32_e32 vcc, s11, v0
	v_mov_b64_e32 v[2:3], 0
	s_mul_i32 s17, s11, s18
	v_mov_b64_e32 v[4:5], 0
	s_and_saveexec_b64 s[4:5], vcc
	s_cbranch_execz .LBB15_26
; %bb.25:                               ;   in Loop: Header=BB15_24 Depth=1
	s_lshl_b32 s19, s17, 4
	s_lshl_b32 s20, s11, 4
	v_add_u32_e32 v8, s19, v1
	s_add_i32 s19, s20, s19
	v_mov_b32_e32 v2, s19
	ds_read_b128 v[2:5], v2
	ds_read_b128 v[8:11], v8
	s_waitcnt lgkmcnt(0)
	v_mul_f64 v[12:13], v[4:5], v[10:11]
	v_mul_f64 v[10:11], v[2:3], v[10:11]
	v_fma_f64 v[2:3], v[2:3], v[8:9], -v[12:13]
	v_fmac_f64_e32 v[10:11], v[4:5], v[8:9]
	v_add_f64 v[2:3], v[2:3], 0
	v_add_f64 v[4:5], v[10:11], 0
.LBB15_26:                              ;   in Loop: Header=BB15_24 Depth=1
	s_or_b64 exec, exec, s[4:5]
	s_add_i32 s11, s11, 1
	s_cmp_ge_i32 s11, s18
	s_barrier
	s_cbranch_scc1 .LBB15_23
; %bb.27:                               ;   in Loop: Header=BB15_24 Depth=1
	v_lshl_add_u32 v8, s17, 4, v1
	s_mov_b32 s17, s8
	v_mov_b32_e32 v9, v7
	s_mov_b32 s19, s11
	s_branch .LBB15_29
.LBB15_28:                              ;   in Loop: Header=BB15_29 Depth=2
	s_or_b64 exec, exec, s[4:5]
	s_add_i32 s19, s19, 1
	s_add_i32 s17, s17, 16
	s_cmp_eq_u32 s18, s19
	v_add_u32_e32 v9, s10, v9
	s_barrier
	s_cbranch_scc1 .LBB15_23
.LBB15_29:                              ;   Parent Loop BB15_24 Depth=1
                                        ; =>  This Inner Loop Header: Depth=2
	v_cmp_eq_u32_e32 vcc, s19, v0
	s_and_saveexec_b64 s[4:5], vcc
	s_cbranch_execz .LBB15_31
; %bb.30:                               ;   in Loop: Header=BB15_29 Depth=2
	ds_read_b128 v[10:13], v6
	v_add_f64 v[16:17], -v[2:3], 0
	s_waitcnt lgkmcnt(0)
	v_mul_f64 v[14:15], v[4:5], v[12:13]
	v_mul_f64 v[18:19], v[4:5], v[10:11]
	v_fmac_f64_e32 v[14:15], v[16:17], v[10:11]
	v_fma_f64 v[16:17], v[16:17], v[12:13], -v[18:19]
	ds_write_b128 v8, v[14:17]
.LBB15_31:                              ;   in Loop: Header=BB15_29 Depth=2
	s_or_b64 exec, exec, s[4:5]
	v_cmp_lt_u32_e32 vcc, s19, v0
	s_waitcnt lgkmcnt(0)
	s_barrier
	s_and_saveexec_b64 s[4:5], vcc
	s_cbranch_execz .LBB15_28
; %bb.32:                               ;   in Loop: Header=BB15_29 Depth=2
	v_mov_b32_e32 v14, s17
	ds_read_b128 v[10:13], v9
	ds_read_b128 v[14:17], v14
	s_waitcnt lgkmcnt(0)
	v_mul_f64 v[18:19], v[16:17], v[12:13]
	v_mul_f64 v[12:13], v[14:15], v[12:13]
	v_fma_f64 v[14:15], v[14:15], v[10:11], -v[18:19]
	v_fmac_f64_e32 v[12:13], v[16:17], v[10:11]
	v_add_f64 v[2:3], v[2:3], v[14:15]
	v_add_f64 v[4:5], v[4:5], v[12:13]
	s_branch .LBB15_28
.LBB15_33:
	s_and_saveexec_b64 s[4:5], s[6:7]
	s_cbranch_execz .LBB15_41
; %bb.34:
	s_load_dwordx4 s[20:23], s[0:1], 0x50
	s_load_dword s4, s[0:1], 0x48
	s_mov_b64 s[6:7], -1
	s_waitcnt lgkmcnt(0)
	s_mul_i32 s1, s21, s3
	s_mul_hi_u32 s5, s20, s3
	s_mul_i32 s0, s20, s3
	s_mul_i32 s3, s23, s2
	s_add_i32 s1, s5, s1
	s_mul_hi_u32 s5, s22, s2
	s_add_i32 s3, s5, s3
	s_mul_i32 s2, s22, s2
	s_cmpk_lg_i32 s16, 0x7a
	s_cbranch_scc0 .LBB15_38
; %bb.35:
	s_add_i32 s11, s18, -1
	s_ashr_i32 s5, s4, 31
	s_lshl_b64 s[6:7], s[2:3], 4
	s_lshl_b64 s[8:9], s[0:1], 4
	s_add_u32 s8, s6, s8
	s_addc_u32 s9, s7, s9
	s_mul_i32 s6, s5, s11
	s_mul_hi_u32 s7, s4, s11
	s_add_i32 s7, s7, s6
	s_mul_i32 s6, s4, s11
	s_lshl_b64 s[6:7], s[6:7], 4
	s_add_u32 s8, s8, s6
	s_addc_u32 s9, s9, s7
	s_lshl_b64 s[6:7], s[14:15], 4
	s_add_u32 s6, s8, s6
	s_addc_u32 s7, s9, s7
	s_add_u32 s6, s12, s6
	v_sub_u32_e32 v2, s11, v0
	s_addc_u32 s7, s13, s7
	s_lshl_b64 s[8:9], s[4:5], 4
	v_lshlrev_b32_e32 v4, 4, v2
	v_lshlrev_b32_e32 v2, 4, v0
	v_mov_b32_e32 v3, 0
	s_sub_u32 s8, 0, s8
	v_lshl_add_u64 v[2:3], s[6:7], 0, v[2:3]
	s_mov_b64 s[6:7], 0
	s_subb_u32 s9, 0, s9
.LBB15_36:                              ; =>This Inner Loop Header: Depth=1
	ds_read2_b64 v[6:9], v4 offset1:1
	s_add_i32 s18, s18, -1
	v_cmp_le_u32_e32 vcc, s18, v0
	v_add_u32_e32 v4, s10, v4
	s_or_b64 s[6:7], vcc, s[6:7]
	s_waitcnt lgkmcnt(0)
	global_store_dwordx4 v[2:3], v[6:9], off
	v_lshl_add_u64 v[2:3], v[2:3], 0, s[8:9]
	s_andn2_b64 exec, exec, s[6:7]
	s_cbranch_execnz .LBB15_36
; %bb.37:
	s_or_b64 exec, exec, s[6:7]
	s_mov_b64 s[6:7], 0
.LBB15_38:
	s_and_b64 vcc, exec, s[6:7]
	s_cbranch_vccz .LBB15_41
; %bb.39:
	s_lshl_b64 s[0:1], s[0:1], 4
	s_add_u32 s5, s12, s0
	s_addc_u32 s6, s13, s1
	s_lshl_b64 s[0:1], s[14:15], 4
	s_add_u32 s5, s5, s0
	s_addc_u32 s6, s6, s1
	;; [unrolled: 3-line block ×3, first 2 shown]
	s_ashr_i32 s5, s4, 31
	v_lshlrev_b32_e32 v2, 4, v0
	v_mov_b32_e32 v3, 0
	v_lshl_add_u64 v[2:3], s[0:1], 0, v[2:3]
	v_add_u32_e32 v0, 1, v0
	s_lshl_b64 s[0:1], s[4:5], 4
	s_mov_b64 s[2:3], 0
.LBB15_40:                              ; =>This Inner Loop Header: Depth=1
	ds_read2_b64 v[4:7], v1 offset1:1
	v_add_u32_e32 v0, -1, v0
	v_cmp_eq_u32_e32 vcc, 0, v0
	v_add_u32_e32 v1, s10, v1
	s_or_b64 s[2:3], vcc, s[2:3]
	s_waitcnt lgkmcnt(0)
	global_store_dwordx4 v[2:3], v[4:7], off
	v_lshl_add_u64 v[2:3], v[2:3], 0, s[0:1]
	s_andn2_b64 exec, exec, s[2:3]
	s_cbranch_execnz .LBB15_40
.LBB15_41:
	s_endpgm
	.section	.rodata,"a",@progbits
	.p2align	6, 0x0
	.amdhsa_kernel _ZL30rocblas_trtri_remainder_kernelILi16E19rocblas_complex_numIdEPKS1_PS1_Ev13rocblas_fill_17rocblas_diagonal_iT1_lillT2_lilli
		.amdhsa_group_segment_fixed_size 16384
		.amdhsa_private_segment_fixed_size 0
		.amdhsa_kernarg_size 100
		.amdhsa_user_sgpr_count 2
		.amdhsa_user_sgpr_dispatch_ptr 0
		.amdhsa_user_sgpr_queue_ptr 0
		.amdhsa_user_sgpr_kernarg_segment_ptr 1
		.amdhsa_user_sgpr_dispatch_id 0
		.amdhsa_user_sgpr_kernarg_preload_length 0
		.amdhsa_user_sgpr_kernarg_preload_offset 0
		.amdhsa_user_sgpr_private_segment_size 0
		.amdhsa_uses_dynamic_stack 0
		.amdhsa_enable_private_segment 0
		.amdhsa_system_sgpr_workgroup_id_x 1
		.amdhsa_system_sgpr_workgroup_id_y 0
		.amdhsa_system_sgpr_workgroup_id_z 1
		.amdhsa_system_sgpr_workgroup_info 0
		.amdhsa_system_vgpr_workitem_id 0
		.amdhsa_next_free_vgpr 20
		.amdhsa_next_free_sgpr 34
		.amdhsa_accum_offset 20
		.amdhsa_reserve_vcc 1
		.amdhsa_float_round_mode_32 0
		.amdhsa_float_round_mode_16_64 0
		.amdhsa_float_denorm_mode_32 3
		.amdhsa_float_denorm_mode_16_64 3
		.amdhsa_dx10_clamp 1
		.amdhsa_ieee_mode 1
		.amdhsa_fp16_overflow 0
		.amdhsa_tg_split 0
		.amdhsa_exception_fp_ieee_invalid_op 0
		.amdhsa_exception_fp_denorm_src 0
		.amdhsa_exception_fp_ieee_div_zero 0
		.amdhsa_exception_fp_ieee_overflow 0
		.amdhsa_exception_fp_ieee_underflow 0
		.amdhsa_exception_fp_ieee_inexact 0
		.amdhsa_exception_int_div_zero 0
	.end_amdhsa_kernel
	.section	.text._ZL30rocblas_trtri_remainder_kernelILi16E19rocblas_complex_numIdEPKS1_PS1_Ev13rocblas_fill_17rocblas_diagonal_iT1_lillT2_lilli,"axG",@progbits,_ZL30rocblas_trtri_remainder_kernelILi16E19rocblas_complex_numIdEPKS1_PS1_Ev13rocblas_fill_17rocblas_diagonal_iT1_lillT2_lilli,comdat
.Lfunc_end15:
	.size	_ZL30rocblas_trtri_remainder_kernelILi16E19rocblas_complex_numIdEPKS1_PS1_Ev13rocblas_fill_17rocblas_diagonal_iT1_lillT2_lilli, .Lfunc_end15-_ZL30rocblas_trtri_remainder_kernelILi16E19rocblas_complex_numIdEPKS1_PS1_Ev13rocblas_fill_17rocblas_diagonal_iT1_lillT2_lilli
                                        ; -- End function
	.set _ZL30rocblas_trtri_remainder_kernelILi16E19rocblas_complex_numIdEPKS1_PS1_Ev13rocblas_fill_17rocblas_diagonal_iT1_lillT2_lilli.num_vgpr, 20
	.set _ZL30rocblas_trtri_remainder_kernelILi16E19rocblas_complex_numIdEPKS1_PS1_Ev13rocblas_fill_17rocblas_diagonal_iT1_lillT2_lilli.num_agpr, 0
	.set _ZL30rocblas_trtri_remainder_kernelILi16E19rocblas_complex_numIdEPKS1_PS1_Ev13rocblas_fill_17rocblas_diagonal_iT1_lillT2_lilli.numbered_sgpr, 34
	.set _ZL30rocblas_trtri_remainder_kernelILi16E19rocblas_complex_numIdEPKS1_PS1_Ev13rocblas_fill_17rocblas_diagonal_iT1_lillT2_lilli.num_named_barrier, 0
	.set _ZL30rocblas_trtri_remainder_kernelILi16E19rocblas_complex_numIdEPKS1_PS1_Ev13rocblas_fill_17rocblas_diagonal_iT1_lillT2_lilli.private_seg_size, 0
	.set _ZL30rocblas_trtri_remainder_kernelILi16E19rocblas_complex_numIdEPKS1_PS1_Ev13rocblas_fill_17rocblas_diagonal_iT1_lillT2_lilli.uses_vcc, 1
	.set _ZL30rocblas_trtri_remainder_kernelILi16E19rocblas_complex_numIdEPKS1_PS1_Ev13rocblas_fill_17rocblas_diagonal_iT1_lillT2_lilli.uses_flat_scratch, 0
	.set _ZL30rocblas_trtri_remainder_kernelILi16E19rocblas_complex_numIdEPKS1_PS1_Ev13rocblas_fill_17rocblas_diagonal_iT1_lillT2_lilli.has_dyn_sized_stack, 0
	.set _ZL30rocblas_trtri_remainder_kernelILi16E19rocblas_complex_numIdEPKS1_PS1_Ev13rocblas_fill_17rocblas_diagonal_iT1_lillT2_lilli.has_recursion, 0
	.set _ZL30rocblas_trtri_remainder_kernelILi16E19rocblas_complex_numIdEPKS1_PS1_Ev13rocblas_fill_17rocblas_diagonal_iT1_lillT2_lilli.has_indirect_call, 0
	.section	.AMDGPU.csdata,"",@progbits
; Kernel info:
; codeLenInByte = 1720
; TotalNumSgprs: 40
; NumVgprs: 20
; NumAgprs: 0
; TotalNumVgprs: 20
; ScratchSize: 0
; MemoryBound: 0
; FloatMode: 240
; IeeeMode: 1
; LDSByteSize: 16384 bytes/workgroup (compile time only)
; SGPRBlocks: 4
; VGPRBlocks: 2
; NumSGPRsForWavesPerEU: 40
; NumVGPRsForWavesPerEU: 20
; AccumOffset: 20
; Occupancy: 8
; WaveLimiterHint : 0
; COMPUTE_PGM_RSRC2:SCRATCH_EN: 0
; COMPUTE_PGM_RSRC2:USER_SGPR: 2
; COMPUTE_PGM_RSRC2:TRAP_HANDLER: 0
; COMPUTE_PGM_RSRC2:TGID_X_EN: 1
; COMPUTE_PGM_RSRC2:TGID_Y_EN: 0
; COMPUTE_PGM_RSRC2:TGID_Z_EN: 1
; COMPUTE_PGM_RSRC2:TIDIG_COMP_CNT: 0
; COMPUTE_PGM_RSRC3_GFX90A:ACCUM_OFFSET: 4
; COMPUTE_PGM_RSRC3_GFX90A:TG_SPLIT: 0
	.section	.text._ZL18rocblas_trtri_fillILi128EfPKPfEvP15_rocblas_handle13rocblas_fill_ililT1_llii,"axG",@progbits,_ZL18rocblas_trtri_fillILi128EfPKPfEvP15_rocblas_handle13rocblas_fill_ililT1_llii,comdat
	.globl	_ZL18rocblas_trtri_fillILi128EfPKPfEvP15_rocblas_handle13rocblas_fill_ililT1_llii ; -- Begin function _ZL18rocblas_trtri_fillILi128EfPKPfEvP15_rocblas_handle13rocblas_fill_ililT1_llii
	.p2align	8
	.type	_ZL18rocblas_trtri_fillILi128EfPKPfEvP15_rocblas_handle13rocblas_fill_ililT1_llii,@function
_ZL18rocblas_trtri_fillILi128EfPKPfEvP15_rocblas_handle13rocblas_fill_ililT1_llii: ; @_ZL18rocblas_trtri_fillILi128EfPKPfEvP15_rocblas_handle13rocblas_fill_ililT1_llii
; %bb.0:
	s_mov_b32 s12, s3
	s_load_dword s3, s[0:1], 0x40
	s_load_dwordx2 s[8:9], s[0:1], 0x10
	s_waitcnt lgkmcnt(0)
	s_ashr_i32 s4, s3, 31
	s_mul_hi_u32 s5, s8, s3
	s_mul_i32 s4, s8, s4
	s_add_i32 s4, s5, s4
	s_mul_i32 s5, s9, s3
	s_mul_i32 s10, s8, s3
	s_mov_b32 s3, 0
	s_add_i32 s11, s4, s5
	s_lshl_b64 s[4:5], s[2:3], 7
	v_or_b32_e32 v0, s4, v0
	v_mov_b32_e32 v1, s5
	v_cmp_gt_u64_e32 vcc, s[10:11], v[0:1]
	s_and_saveexec_b64 s[4:5], vcc
	s_cbranch_execz .LBB16_14
; %bb.1:
	s_load_dword s2, s[0:1], 0x18
	s_load_dwordx4 s[4:7], s[0:1], 0x20
	s_load_dwordx2 s[14:15], s[0:1], 0x30
	s_mov_b32 s13, s3
	s_lshl_b64 s[12:13], s[12:13], 3
	s_waitcnt lgkmcnt(0)
	s_ashr_i32 s3, s2, 31
	s_add_u32 s12, s6, s12
	v_cvt_f32_u32_e32 v4, s8
	v_cvt_f32_u32_e32 v5, s9
	s_addc_u32 s13, s7, s13
	s_load_dwordx2 s[16:17], s[12:13], 0x0
	s_load_dwordx2 s[6:7], s[0:1], 0x8
	s_lshl_b64 s[12:13], s[14:15], 2
	v_fmamk_f32 v4, v5, 0x4f800000, v4
	v_rcp_f32_e32 v5, v4
	v_cvt_f32_u32_e32 v6, s8
	s_waitcnt lgkmcnt(0)
	s_add_u32 s12, s16, s12
	s_addc_u32 s13, s17, s13
	s_add_i32 s14, s7, -2
	v_cvt_f64_i32_e32 v[2:3], s14
	s_add_i32 s14, s7, -1
	s_mul_hi_i32 s15, s14, s7
	s_mul_i32 s14, s14, s7
	v_mul_f32_e32 v5, 0x5f7ffffc, v5
	v_rcp_iflag_f32_e32 v6, v6
	s_ashr_i32 s24, s7, 31
	s_lshl_b64 s[16:17], s[14:15], 2
	v_mul_f32_e32 v7, 0x2f800000, v5
	s_mov_b32 s25, s7
	s_add_u32 s7, s16, -7
	s_load_dword s16, s[0:1], 0x48
	s_load_dword s18, s[0:1], 0x54
	v_trunc_f32_e32 v7, v7
	v_fmamk_f32 v5, v7, 0xcf800000, v5
	v_cvt_u32_f32_e32 v10, v5
	v_mul_f32_e32 v5, 0x4f7ffffe, v6
	v_cvt_u32_f32_e32 v11, v7
	v_cvt_u32_f32_e32 v12, v5
	s_addc_u32 s26, s17, -1
	s_waitcnt lgkmcnt(0)
	s_and_b32 s0, s18, 0xffff
	s_mov_b32 s20, 0
	s_lshr_b64 s[14:15], s[14:15], 1
	s_mul_hi_u32 s17, s0, s16
	s_mul_i32 s16, s0, s16
	s_mov_b64 s[18:19], 0
	v_mov_b32_e32 v4, 0
	s_brev_b32 s21, 8
	v_mov_b32_e32 v13, 0x260
	s_movk_i32 s27, 0xffe0
	v_mov_b32_e32 v14, 0x100
	v_mov_b32_e32 v15, 0xffffff80
	s_branch .LBB16_3
.LBB16_2:                               ;   in Loop: Header=BB16_3 Depth=1
	v_lshl_add_u64 v[0:1], v[0:1], 0, s[16:17]
	v_cmp_le_u64_e32 vcc, s[10:11], v[0:1]
	s_or_b64 s[18:19], vcc, s[18:19]
	s_andn2_b64 exec, exec, s[18:19]
	s_cbranch_execz .LBB16_14
.LBB16_3:                               ; =>This Inner Loop Header: Depth=1
	v_or_b32_e32 v5, s9, v1
	v_cmp_ne_u64_e32 vcc, 0, v[4:5]
                                        ; implicit-def: $vgpr6_vgpr7
	s_and_saveexec_b64 s[0:1], vcc
	s_xor_b64 s[22:23], exec, s[0:1]
	s_cbranch_execz .LBB16_5
; %bb.4:                                ;   in Loop: Header=BB16_3 Depth=1
	s_sub_u32 s28, 0, s8
	v_readfirstlane_b32 s0, v10
	v_readfirstlane_b32 s31, v11
	s_subb_u32 s29, 0, s9
	s_mul_hi_u32 s30, s28, s0
	s_mul_i32 s33, s28, s31
	s_mul_i32 s1, s29, s0
	s_add_i32 s30, s30, s33
	s_add_i32 s30, s30, s1
	s_mul_i32 s34, s28, s0
	s_mul_i32 s33, s0, s30
	s_mul_hi_u32 s35, s0, s34
	s_mul_hi_u32 s1, s0, s30
	s_add_u32 s33, s35, s33
	s_addc_u32 s1, 0, s1
	s_mul_hi_u32 s36, s31, s34
	s_mul_i32 s34, s31, s34
	s_add_u32 s33, s33, s34
	s_mul_hi_u32 s35, s31, s30
	s_addc_u32 s1, s1, s36
	s_addc_u32 s33, s35, 0
	s_mul_i32 s30, s31, s30
	s_add_u32 s1, s1, s30
	s_addc_u32 s30, 0, s33
	s_add_u32 s33, s0, s1
	s_cselect_b64 s[0:1], -1, 0
	s_cmp_lg_u64 s[0:1], 0
	s_addc_u32 s30, s31, s30
	s_mul_i32 s0, s28, s30
	s_mul_hi_u32 s1, s28, s33
	s_add_i32 s0, s1, s0
	s_mul_i32 s29, s29, s33
	s_add_i32 s0, s0, s29
	s_mul_i32 s28, s28, s33
	s_mul_hi_u32 s29, s30, s28
	s_mul_i32 s31, s30, s28
	s_mul_i32 s35, s33, s0
	s_mul_hi_u32 s28, s33, s28
	s_mul_hi_u32 s34, s33, s0
	s_add_u32 s28, s28, s35
	s_addc_u32 s34, 0, s34
	s_add_u32 s28, s28, s31
	s_mul_hi_u32 s1, s30, s0
	s_addc_u32 s28, s34, s29
	s_addc_u32 s1, s1, 0
	s_mul_i32 s0, s30, s0
	s_add_u32 s0, s28, s0
	s_addc_u32 s28, 0, s1
	s_add_u32 s29, s33, s0
	s_cselect_b64 s[0:1], -1, 0
	s_cmp_lg_u64 s[0:1], 0
	s_addc_u32 s28, s30, s28
	v_mad_u64_u32 v[6:7], s[0:1], v0, s28, 0
	v_mul_hi_u32 v8, v0, s29
	v_mov_b32_e32 v9, v4
	v_lshl_add_u64 v[6:7], v[8:9], 0, v[6:7]
	v_mad_u64_u32 v[16:17], s[0:1], v1, s29, 0
	v_add_co_u32_e32 v5, vcc, v6, v16
	v_mad_u64_u32 v[8:9], s[0:1], v1, s28, 0
	s_nop 0
	v_addc_co_u32_e32 v6, vcc, v7, v17, vcc
	v_mov_b32_e32 v7, v4
	s_nop 0
	v_addc_co_u32_e32 v9, vcc, 0, v9, vcc
	v_lshl_add_u64 v[6:7], v[6:7], 0, v[8:9]
	v_mul_lo_u32 v5, s9, v6
	v_mul_lo_u32 v16, s8, v7
	v_mad_u64_u32 v[8:9], s[0:1], s8, v6, 0
	v_add3_u32 v5, v9, v16, v5
	v_sub_u32_e32 v9, v1, v5
	v_mov_b32_e32 v16, s9
	v_sub_co_u32_e32 v18, vcc, v0, v8
	s_nop 1
	v_subb_co_u32_e64 v8, s[0:1], v9, v16, vcc
	v_subrev_co_u32_e64 v9, s[0:1], s8, v18
	v_subb_co_u32_e32 v5, vcc, v1, v5, vcc
	s_nop 0
	v_subbrev_co_u32_e64 v8, s[0:1], 0, v8, s[0:1]
	v_cmp_le_u32_e64 s[0:1], s9, v8
	v_cmp_le_u32_e32 vcc, s9, v5
	s_nop 0
	v_cndmask_b32_e64 v16, 0, -1, s[0:1]
	v_cmp_le_u32_e64 s[0:1], s8, v9
	s_nop 1
	v_cndmask_b32_e64 v9, 0, -1, s[0:1]
	v_cmp_eq_u32_e64 s[0:1], s9, v8
	s_nop 1
	v_cndmask_b32_e64 v19, v16, v9, s[0:1]
	v_lshl_add_u64 v[8:9], v[6:7], 0, 2
	v_lshl_add_u64 v[16:17], v[6:7], 0, 1
	v_cmp_ne_u32_e64 s[0:1], 0, v19
	s_nop 1
	v_cndmask_b32_e64 v9, v17, v9, s[0:1]
	v_cndmask_b32_e64 v17, 0, -1, vcc
	v_cmp_le_u32_e32 vcc, s8, v18
	s_nop 1
	v_cndmask_b32_e64 v18, 0, -1, vcc
	v_cmp_eq_u32_e32 vcc, s9, v5
	s_nop 1
	v_cndmask_b32_e32 v5, v17, v18, vcc
	v_cmp_ne_u32_e32 vcc, 0, v5
	v_cndmask_b32_e64 v5, v16, v8, s[0:1]
	s_nop 0
	v_cndmask_b32_e32 v7, v7, v9, vcc
	v_cndmask_b32_e32 v6, v6, v5, vcc
.LBB16_5:                               ;   in Loop: Header=BB16_3 Depth=1
	s_andn2_saveexec_b64 s[0:1], s[22:23]
	s_cbranch_execz .LBB16_7
; %bb.6:                                ;   in Loop: Header=BB16_3 Depth=1
	s_sub_i32 s22, 0, s8
	v_mul_lo_u32 v5, s22, v12
	v_mul_hi_u32 v5, v12, v5
	v_add_u32_e32 v5, v12, v5
	v_mul_hi_u32 v5, v0, v5
	v_mul_lo_u32 v6, v5, s8
	v_sub_u32_e32 v6, v0, v6
	v_subrev_u32_e32 v7, s8, v6
	v_cmp_le_u32_e32 vcc, s8, v6
	s_nop 1
	v_cndmask_b32_e32 v6, v6, v7, vcc
	v_add_u32_e32 v7, 1, v5
	v_cndmask_b32_e32 v5, v5, v7, vcc
	v_add_u32_e32 v7, 1, v5
	v_cmp_le_u32_e32 vcc, s8, v6
	s_nop 1
	v_cndmask_b32_e32 v6, v5, v7, vcc
	v_mov_b32_e32 v7, v4
.LBB16_7:                               ;   in Loop: Header=BB16_3 Depth=1
	s_or_b64 exec, exec, s[0:1]
	v_mul_lo_u32 v5, v7, s8
	v_mul_lo_u32 v16, v6, s9
	v_mad_u64_u32 v[8:9], s[0:1], v6, s8, 0
	v_add3_u32 v5, v9, v16, v5
	v_sub_co_u32_e32 v8, vcc, v0, v8
	s_cmpk_lt_i32 s6, 0x7a
	s_nop 0
	v_subb_co_u32_e32 v9, vcc, v1, v5, vcc
	s_mov_b64 s[0:1], -1
	s_cbranch_scc1 .LBB16_11
; %bb.8:                                ;   in Loop: Header=BB16_3 Depth=1
	s_cmpk_eq_i32 s6, 0x7a
	s_cbranch_scc0 .LBB16_10
; %bb.9:                                ;   in Loop: Header=BB16_3 Depth=1
	v_lshlrev_b64 v[16:17], 3, v[8:9]
	v_mov_b32_e32 v5, s26
	v_sub_co_u32_e32 v18, vcc, s7, v16
	v_cvt_f64_u32_e32 v[18:19], v18
	s_nop 0
	v_subb_co_u32_e32 v5, vcc, v5, v17, vcc
	v_cvt_f64_u32_e32 v[16:17], v5
	v_ldexp_f64 v[16:17], v[16:17], 32
	v_add_f64 v[16:17], v[16:17], v[18:19]
	v_cmp_gt_f64_e32 vcc, s[20:21], v[16:17]
	s_nop 1
	v_cndmask_b32_e32 v5, 0, v14, vcc
	v_ldexp_f64 v[16:17], v[16:17], v5
	v_rsq_f64_e32 v[18:19], v[16:17]
	v_cndmask_b32_e32 v5, 0, v15, vcc
	v_cmp_class_f64_e32 vcc, v[16:17], v13
	v_mul_f64 v[20:21], v[16:17], v[18:19]
	v_mul_f64 v[18:19], v[18:19], 0.5
	v_fma_f64 v[22:23], -v[18:19], v[20:21], 0.5
	v_fmac_f64_e32 v[20:21], v[20:21], v[22:23]
	v_fma_f64 v[24:25], -v[20:21], v[20:21], v[16:17]
	v_fmac_f64_e32 v[18:19], v[18:19], v[22:23]
	v_fmac_f64_e32 v[20:21], v[24:25], v[18:19]
	v_fma_f64 v[22:23], -v[20:21], v[20:21], v[16:17]
	v_fmac_f64_e32 v[20:21], v[22:23], v[18:19]
	v_ldexp_f64 v[18:19], v[20:21], v5
	v_cndmask_b32_e32 v17, v19, v17, vcc
	v_cndmask_b32_e32 v16, v18, v16, vcc
	v_fma_f64 v[16:17], v[16:17], 0.5, -0.5
	v_floor_f64_e32 v[16:17], v[16:17]
	v_add_f64 v[16:17], v[2:3], -v[16:17]
	v_trunc_f64_e32 v[16:17], v[16:17]
	v_ldexp_f64 v[18:19], v[16:17], s27
	v_floor_f64_e32 v[18:19], v[18:19]
	v_fmac_f64_e32 v[16:17], 0xc1f00000, v[18:19]
	v_cvt_u32_f64_e32 v16, v[16:17]
	v_cvt_u32_f64_e32 v17, v[18:19]
	v_mov_b32_e32 v5, s15
	v_subrev_co_u32_e32 v18, vcc, s14, v8
	v_mul_lo_u32 v24, v6, s5
	s_nop 0
	v_subb_co_u32_e32 v19, vcc, v9, v5, vcc
	v_mov_b32_e32 v5, s24
	v_sub_co_u32_e32 v20, vcc, s25, v16
	v_mul_lo_u32 v26, v17, s2
	s_nop 0
	v_subb_co_u32_e32 v21, vcc, v5, v17, vcc
	v_lshl_add_u64 v[22:23], v[20:21], 0, -1
	v_mul_lo_u32 v5, v23, v20
	v_mul_lo_u32 v23, v22, v21
	v_mad_u64_u32 v[20:21], s[0:1], v22, v20, 0
	v_add3_u32 v21, v21, v23, v5
	v_mul_lo_u32 v5, v7, s4
	v_mad_u64_u32 v[22:23], s[0:1], v6, s4, 0
	v_add3_u32 v23, v23, v24, v5
	;; [unrolled: 3-line block ×3, first 2 shown]
	v_lshl_add_u64 v[22:23], v[22:23], 2, s[12:13]
	v_lshl_add_u64 v[22:23], v[24:25], 2, v[22:23]
	;; [unrolled: 1-line block ×4, first 2 shown]
	v_lshlrev_b64 v[18:19], 1, v[20:21]
	v_and_b32_e32 v18, -4, v18
	v_lshl_add_u64 v[16:17], v[16:17], 0, v[18:19]
	flat_store_dword v[16:17], v4 offset:4
.LBB16_10:                              ;   in Loop: Header=BB16_3 Depth=1
	s_mov_b64 s[0:1], 0
.LBB16_11:                              ;   in Loop: Header=BB16_3 Depth=1
	s_andn2_b64 vcc, exec, s[0:1]
	s_cbranch_vccnz .LBB16_2
; %bb.12:                               ;   in Loop: Header=BB16_3 Depth=1
	s_cmpk_lg_i32 s6, 0x79
	s_cbranch_scc1 .LBB16_2
; %bb.13:                               ;   in Loop: Header=BB16_3 Depth=1
	v_lshlrev_b64 v[16:17], 3, v[8:9]
	v_or_b32_e32 v5, 1, v16
	v_cvt_f64_u32_e32 v[16:17], v17
	v_ldexp_f64 v[16:17], v[16:17], 32
	v_cvt_f64_u32_e32 v[18:19], v5
	v_add_f64 v[16:17], v[16:17], v[18:19]
	v_cmp_gt_f64_e32 vcc, s[20:21], v[16:17]
	s_nop 1
	v_cndmask_b32_e32 v5, 0, v14, vcc
	v_ldexp_f64 v[16:17], v[16:17], v5
	v_rsq_f64_e32 v[18:19], v[16:17]
	v_cndmask_b32_e32 v5, 0, v15, vcc
	v_cmp_class_f64_e32 vcc, v[16:17], v13
	v_mul_f64 v[20:21], v[16:17], v[18:19]
	v_mul_f64 v[18:19], v[18:19], 0.5
	v_fma_f64 v[22:23], -v[18:19], v[20:21], 0.5
	v_fmac_f64_e32 v[20:21], v[20:21], v[22:23]
	v_fma_f64 v[24:25], -v[20:21], v[20:21], v[16:17]
	v_fmac_f64_e32 v[18:19], v[18:19], v[22:23]
	v_fmac_f64_e32 v[20:21], v[24:25], v[18:19]
	v_fma_f64 v[22:23], -v[20:21], v[20:21], v[16:17]
	v_fmac_f64_e32 v[20:21], v[22:23], v[18:19]
	v_ldexp_f64 v[18:19], v[20:21], v5
	v_cndmask_b32_e32 v17, v19, v17, vcc
	v_cndmask_b32_e32 v16, v18, v16, vcc
	v_add_f64 v[16:17], v[16:17], -1.0
	v_mul_f64 v[16:17], v[16:17], 0.5
	v_trunc_f64_e32 v[16:17], v[16:17]
	v_ldexp_f64 v[18:19], v[16:17], s27
	v_floor_f64_e32 v[18:19], v[18:19]
	v_fmac_f64_e32 v[16:17], 0xc1f00000, v[18:19]
	v_cvt_u32_f64_e32 v16, v[16:17]
	v_cvt_u32_f64_e32 v17, v[18:19]
	v_mad_u64_u32 v[18:19], s[0:1], v16, v16, v[16:17]
	v_mul_lo_u32 v5, v16, v17
	v_add3_u32 v19, v5, v19, v5
	v_lshrrev_b64 v[18:19], 1, v[18:19]
	v_sub_co_u32_e32 v8, vcc, v8, v18
	v_mul_lo_u32 v5, v7, s4
	v_mul_lo_u32 v18, v6, s5
	v_mad_u64_u32 v[6:7], s[0:1], v6, s4, 0
	v_subb_co_u32_e32 v9, vcc, v9, v19, vcc
	v_add3_u32 v7, v7, v18, v5
	v_mov_b64_e32 v[18:19], s[2:3]
	v_mul_lo_u32 v5, s3, v16
	v_mad_u64_u32 v[18:19], s[0:1], s2, v16, v[18:19]
	v_mul_lo_u32 v16, s2, v17
	v_add3_u32 v19, v5, v19, v16
	v_lshl_add_u64 v[6:7], v[6:7], 2, s[12:13]
	v_lshl_add_u64 v[6:7], v[18:19], 2, v[6:7]
	;; [unrolled: 1-line block ×3, first 2 shown]
	flat_store_dword v[6:7], v4
	s_branch .LBB16_2
.LBB16_14:
	s_endpgm
	.section	.rodata,"a",@progbits
	.p2align	6, 0x0
	.amdhsa_kernel _ZL18rocblas_trtri_fillILi128EfPKPfEvP15_rocblas_handle13rocblas_fill_ililT1_llii
		.amdhsa_group_segment_fixed_size 0
		.amdhsa_private_segment_fixed_size 0
		.amdhsa_kernarg_size 328
		.amdhsa_user_sgpr_count 2
		.amdhsa_user_sgpr_dispatch_ptr 0
		.amdhsa_user_sgpr_queue_ptr 0
		.amdhsa_user_sgpr_kernarg_segment_ptr 1
		.amdhsa_user_sgpr_dispatch_id 0
		.amdhsa_user_sgpr_kernarg_preload_length 0
		.amdhsa_user_sgpr_kernarg_preload_offset 0
		.amdhsa_user_sgpr_private_segment_size 0
		.amdhsa_uses_dynamic_stack 0
		.amdhsa_enable_private_segment 0
		.amdhsa_system_sgpr_workgroup_id_x 1
		.amdhsa_system_sgpr_workgroup_id_y 0
		.amdhsa_system_sgpr_workgroup_id_z 1
		.amdhsa_system_sgpr_workgroup_info 0
		.amdhsa_system_vgpr_workitem_id 0
		.amdhsa_next_free_vgpr 27
		.amdhsa_next_free_sgpr 37
		.amdhsa_accum_offset 28
		.amdhsa_reserve_vcc 1
		.amdhsa_float_round_mode_32 0
		.amdhsa_float_round_mode_16_64 0
		.amdhsa_float_denorm_mode_32 3
		.amdhsa_float_denorm_mode_16_64 3
		.amdhsa_dx10_clamp 1
		.amdhsa_ieee_mode 1
		.amdhsa_fp16_overflow 0
		.amdhsa_tg_split 0
		.amdhsa_exception_fp_ieee_invalid_op 0
		.amdhsa_exception_fp_denorm_src 0
		.amdhsa_exception_fp_ieee_div_zero 0
		.amdhsa_exception_fp_ieee_overflow 0
		.amdhsa_exception_fp_ieee_underflow 0
		.amdhsa_exception_fp_ieee_inexact 0
		.amdhsa_exception_int_div_zero 0
	.end_amdhsa_kernel
	.section	.text._ZL18rocblas_trtri_fillILi128EfPKPfEvP15_rocblas_handle13rocblas_fill_ililT1_llii,"axG",@progbits,_ZL18rocblas_trtri_fillILi128EfPKPfEvP15_rocblas_handle13rocblas_fill_ililT1_llii,comdat
.Lfunc_end16:
	.size	_ZL18rocblas_trtri_fillILi128EfPKPfEvP15_rocblas_handle13rocblas_fill_ililT1_llii, .Lfunc_end16-_ZL18rocblas_trtri_fillILi128EfPKPfEvP15_rocblas_handle13rocblas_fill_ililT1_llii
                                        ; -- End function
	.set _ZL18rocblas_trtri_fillILi128EfPKPfEvP15_rocblas_handle13rocblas_fill_ililT1_llii.num_vgpr, 27
	.set _ZL18rocblas_trtri_fillILi128EfPKPfEvP15_rocblas_handle13rocblas_fill_ililT1_llii.num_agpr, 0
	.set _ZL18rocblas_trtri_fillILi128EfPKPfEvP15_rocblas_handle13rocblas_fill_ililT1_llii.numbered_sgpr, 37
	.set _ZL18rocblas_trtri_fillILi128EfPKPfEvP15_rocblas_handle13rocblas_fill_ililT1_llii.num_named_barrier, 0
	.set _ZL18rocblas_trtri_fillILi128EfPKPfEvP15_rocblas_handle13rocblas_fill_ililT1_llii.private_seg_size, 0
	.set _ZL18rocblas_trtri_fillILi128EfPKPfEvP15_rocblas_handle13rocblas_fill_ililT1_llii.uses_vcc, 1
	.set _ZL18rocblas_trtri_fillILi128EfPKPfEvP15_rocblas_handle13rocblas_fill_ililT1_llii.uses_flat_scratch, 0
	.set _ZL18rocblas_trtri_fillILi128EfPKPfEvP15_rocblas_handle13rocblas_fill_ililT1_llii.has_dyn_sized_stack, 0
	.set _ZL18rocblas_trtri_fillILi128EfPKPfEvP15_rocblas_handle13rocblas_fill_ililT1_llii.has_recursion, 0
	.set _ZL18rocblas_trtri_fillILi128EfPKPfEvP15_rocblas_handle13rocblas_fill_ililT1_llii.has_indirect_call, 0
	.section	.AMDGPU.csdata,"",@progbits
; Kernel info:
; codeLenInByte = 1852
; TotalNumSgprs: 43
; NumVgprs: 27
; NumAgprs: 0
; TotalNumVgprs: 27
; ScratchSize: 0
; MemoryBound: 0
; FloatMode: 240
; IeeeMode: 1
; LDSByteSize: 0 bytes/workgroup (compile time only)
; SGPRBlocks: 5
; VGPRBlocks: 3
; NumSGPRsForWavesPerEU: 43
; NumVGPRsForWavesPerEU: 27
; AccumOffset: 28
; Occupancy: 8
; WaveLimiterHint : 1
; COMPUTE_PGM_RSRC2:SCRATCH_EN: 0
; COMPUTE_PGM_RSRC2:USER_SGPR: 2
; COMPUTE_PGM_RSRC2:TRAP_HANDLER: 0
; COMPUTE_PGM_RSRC2:TGID_X_EN: 1
; COMPUTE_PGM_RSRC2:TGID_Y_EN: 0
; COMPUTE_PGM_RSRC2:TGID_Z_EN: 1
; COMPUTE_PGM_RSRC2:TIDIG_COMP_CNT: 0
; COMPUTE_PGM_RSRC3_GFX90A:ACCUM_OFFSET: 6
; COMPUTE_PGM_RSRC3_GFX90A:TG_SPLIT: 0
	.section	.text._ZL26rocblas_trtri_small_kernelILi16EfPKPKfPKPfEv13rocblas_fill_17rocblas_diagonal_iT1_lillT2_lilli,"axG",@progbits,_ZL26rocblas_trtri_small_kernelILi16EfPKPKfPKPfEv13rocblas_fill_17rocblas_diagonal_iT1_lillT2_lilli,comdat
	.globl	_ZL26rocblas_trtri_small_kernelILi16EfPKPKfPKPfEv13rocblas_fill_17rocblas_diagonal_iT1_lillT2_lilli ; -- Begin function _ZL26rocblas_trtri_small_kernelILi16EfPKPKfPKPfEv13rocblas_fill_17rocblas_diagonal_iT1_lillT2_lilli
	.p2align	8
	.type	_ZL26rocblas_trtri_small_kernelILi16EfPKPKfPKPfEv13rocblas_fill_17rocblas_diagonal_iT1_lillT2_lilli,@function
_ZL26rocblas_trtri_small_kernelILi16EfPKPKfPKPfEv13rocblas_fill_17rocblas_diagonal_iT1_lillT2_lilli: ; @_ZL26rocblas_trtri_small_kernelILi16EfPKPKfPKPfEv13rocblas_fill_17rocblas_diagonal_iT1_lillT2_lilli
; %bb.0:
	s_load_dwordx4 s[8:11], s[0:1], 0x0
	s_waitcnt lgkmcnt(0)
	s_cmp_lt_i32 s10, 1
	s_cbranch_scc1 .LBB17_36
; %bb.1:
	s_load_dwordx4 s[16:19], s[0:1], 0x30
	s_load_dwordx2 s[20:21], s[0:1], 0x40
	s_mov_b32 s4, s3
	s_mov_b32 s5, 0
	s_lshl_b64 s[26:27], s[4:5], 3
	s_waitcnt lgkmcnt(0)
	s_add_u32 s4, s18, s26
	s_addc_u32 s5, s19, s27
	s_load_dwordx2 s[18:19], s[4:5], 0x0
	v_cmp_le_u32_e64 s[4:5], s10, v0
	v_cmp_gt_u32_e64 s[6:7], s10, v0
	s_and_saveexec_b64 s[22:23], s[6:7]
	s_cbranch_execz .LBB17_9
; %bb.2:
	s_load_dwordx4 s[12:15], s[0:1], 0x10
	s_load_dword s24, s[0:1], 0x20
	s_mul_i32 s3, s17, s2
	s_mul_hi_u32 s11, s16, s2
	s_mul_i32 s16, s16, s2
	s_waitcnt lgkmcnt(0)
	s_add_u32 s12, s12, s26
	s_addc_u32 s13, s13, s27
	s_load_dwordx2 s[12:13], s[12:13], 0x0
	s_add_i32 s17, s11, s3
	s_cmpk_lg_i32 s8, 0x7a
	s_mov_b64 s[26:27], -1
	s_cbranch_scc0 .LBB17_6
; %bb.3:
	s_add_i32 s11, s10, -1
	s_ashr_i32 s25, s24, 31
	s_mul_i32 s28, s25, s11
	s_mul_hi_u32 s29, s24, s11
	s_add_i32 s29, s29, s28
	s_mul_i32 s28, s24, s11
	s_lshl_b32 s3, s10, 2
	s_lshl_b64 s[26:27], s[16:17], 2
	s_lshl_b64 s[28:29], s[28:29], 2
	v_sub_u32_e32 v1, s11, v0
	s_add_u32 s11, s26, s28
	s_addc_u32 s28, s27, s29
	s_lshl_b64 s[26:27], s[14:15], 2
	s_add_u32 s11, s11, s26
	s_addc_u32 s27, s28, s27
	s_waitcnt lgkmcnt(0)
	s_add_u32 s26, s12, s11
	s_addc_u32 s27, s13, s27
	s_lshl_b64 s[28:29], s[24:25], 2
	v_lshlrev_b32_e32 v2, 2, v0
	v_mov_b32_e32 v3, 0
	s_sub_u32 s28, 0, s28
	v_lshlrev_b32_e32 v1, 2, v1
	v_lshl_add_u64 v[2:3], s[26:27], 0, v[2:3]
	s_mov_b64 s[26:27], 0
	s_subb_u32 s29, 0, s29
	s_mov_b32 s11, s10
.LBB17_4:                               ; =>This Inner Loop Header: Depth=1
	flat_load_dword v4, v[2:3]
	s_add_i32 s11, s11, -1
	v_cmp_le_u32_e32 vcc, s11, v0
	v_lshl_add_u64 v[2:3], v[2:3], 0, s[28:29]
	s_or_b64 s[26:27], vcc, s[26:27]
	s_waitcnt vmcnt(0) lgkmcnt(0)
	ds_write_b32 v1, v4
	v_add_u32_e32 v1, s3, v1
	s_andn2_b64 exec, exec, s[26:27]
	s_cbranch_execnz .LBB17_4
; %bb.5:
	s_or_b64 exec, exec, s[26:27]
	s_mov_b64 s[26:27], 0
.LBB17_6:
	s_and_b64 vcc, exec, s[26:27]
	s_cbranch_vccz .LBB17_9
; %bb.7:
	s_lshl_b64 s[14:15], s[14:15], 2
	s_waitcnt lgkmcnt(0)
	s_add_u32 s3, s12, s14
	s_addc_u32 s11, s13, s15
	s_lshl_b64 s[12:13], s[16:17], 2
	s_add_u32 s12, s3, s12
	s_addc_u32 s13, s11, s13
	s_ashr_i32 s25, s24, 31
	v_lshlrev_b32_e32 v2, 2, v0
	v_mov_b32_e32 v3, 0
	v_lshl_add_u64 v[4:5], s[12:13], 0, v[2:3]
	v_add_u32_e32 v1, 1, v0
	s_lshl_b32 s3, s10, 2
	s_lshl_b64 s[12:13], s[24:25], 2
	s_mov_b64 s[14:15], 0
.LBB17_8:                               ; =>This Inner Loop Header: Depth=1
	flat_load_dword v3, v[4:5]
	v_add_u32_e32 v1, -1, v1
	v_cmp_eq_u32_e32 vcc, 0, v1
	v_lshl_add_u64 v[4:5], v[4:5], 0, s[12:13]
	s_or_b64 s[14:15], vcc, s[14:15]
	s_waitcnt vmcnt(0) lgkmcnt(0)
	ds_write_b32 v2, v3
	v_add_u32_e32 v2, s3, v2
	s_andn2_b64 exec, exec, s[14:15]
	s_cbranch_execnz .LBB17_8
.LBB17_9:
	s_or_b64 exec, exec, s[22:23]
	s_waitcnt lgkmcnt(0)
	; wave barrier
                                        ; implicit-def: $vgpr2
	s_and_saveexec_b64 s[12:13], s[4:5]
	s_xor_b64 s[4:5], exec, s[12:13]
; %bb.10:
	v_mad_u64_u32 v[2:3], s[12:13], v0, s10, v[0:1]
; %bb.11:
	s_andn2_saveexec_b64 s[4:5], s[4:5]
	s_cbranch_execz .LBB17_17
; %bb.12:
	v_mad_u64_u32 v[2:3], s[12:13], v0, s10, v[0:1]
	s_cmpk_eq_i32 s9, 0x84
	v_lshlrev_b32_e32 v1, 2, v2
	v_mov_b32_e32 v4, 1.0
	s_cbranch_scc1 .LBB17_16
; %bb.13:
	ds_read_b32 v3, v1
	v_mov_b32_e32 v4, 1.0
	s_waitcnt lgkmcnt(0)
	v_cmp_neq_f32_e32 vcc, 0, v3
	s_and_saveexec_b64 s[12:13], vcc
	s_cbranch_execz .LBB17_15
; %bb.14:
	v_div_scale_f32 v4, s[14:15], v3, v3, 1.0
	v_rcp_f32_e32 v5, v4
	v_div_scale_f32 v6, vcc, 1.0, v3, 1.0
	v_fma_f32 v7, -v4, v5, 1.0
	v_fmac_f32_e32 v5, v7, v5
	v_mul_f32_e32 v7, v6, v5
	v_fma_f32 v8, -v4, v7, v6
	v_fmac_f32_e32 v7, v8, v5
	v_fma_f32 v4, -v4, v7, v6
	v_div_fmas_f32 v4, v4, v5, v7
	v_div_fixup_f32 v4, v4, v3, 1.0
.LBB17_15:
	s_or_b64 exec, exec, s[12:13]
.LBB17_16:
	ds_write_b32 v1, v4
.LBB17_17:
	s_or_b64 exec, exec, s[4:5]
	v_lshlrev_b32_e32 v1, 2, v0
	s_lshl_b32 s9, s10, 2
	v_lshlrev_b32_e32 v2, 2, v2
	s_mov_b32 s3, 4
	s_add_i32 s11, s9, 4
	v_add_u32_e32 v3, s9, v1
	s_mov_b32 s12, 0
	s_waitcnt lgkmcnt(0)
	; wave barrier
	s_branch .LBB17_19
.LBB17_18:                              ;   in Loop: Header=BB17_19 Depth=1
	s_add_i32 s3, s3, s11
	s_cmp_eq_u32 s12, s10
	v_add_u32_e32 v3, s9, v3
	; wave barrier
	s_cbranch_scc1 .LBB17_28
.LBB17_19:                              ; =>This Loop Header: Depth=1
                                        ;     Child Loop BB17_24 Depth 2
	v_cmp_lt_u32_e32 vcc, s12, v0
	s_mul_i32 s13, s12, s10
	v_mov_b32_e32 v4, 0
	s_and_saveexec_b64 s[4:5], vcc
	s_cbranch_execz .LBB17_21
; %bb.20:                               ;   in Loop: Header=BB17_19 Depth=1
	s_lshl_b32 s14, s12, 2
	s_lshl_b32 s15, s13, 2
	s_add_i32 s14, s14, s15
	v_add_u32_e32 v4, s15, v1
	v_mov_b32_e32 v5, s14
	ds_read_b32 v4, v4
	ds_read_b32 v5, v5
	s_waitcnt lgkmcnt(0)
	v_fma_f32 v4, v4, v5, 0
.LBB17_21:                              ;   in Loop: Header=BB17_19 Depth=1
	s_or_b64 exec, exec, s[4:5]
	s_add_i32 s12, s12, 1
	s_cmp_ge_i32 s12, s10
	; wave barrier
	s_cbranch_scc1 .LBB17_18
; %bb.22:                               ;   in Loop: Header=BB17_19 Depth=1
	v_lshl_add_u32 v5, s13, 2, v1
	v_mov_b32_e32 v6, v3
	s_mov_b32 s13, s3
	s_mov_b32 s14, s12
	s_branch .LBB17_24
.LBB17_23:                              ;   in Loop: Header=BB17_24 Depth=2
	s_or_b64 exec, exec, s[4:5]
	s_add_i32 s14, s14, 1
	s_add_i32 s13, s13, 4
	s_cmp_eq_u32 s10, s14
	v_add_u32_e32 v6, s9, v6
	; wave barrier
	s_cbranch_scc1 .LBB17_18
.LBB17_24:                              ;   Parent Loop BB17_19 Depth=1
                                        ; =>  This Inner Loop Header: Depth=2
	v_cmp_eq_u32_e32 vcc, s14, v0
	s_and_saveexec_b64 s[4:5], vcc
	s_cbranch_execz .LBB17_26
; %bb.25:                               ;   in Loop: Header=BB17_24 Depth=2
	ds_read_b32 v7, v2
	s_waitcnt lgkmcnt(0)
	v_mul_f32_e64 v7, -v4, v7
	ds_write_b32 v5, v7
.LBB17_26:                              ;   in Loop: Header=BB17_24 Depth=2
	s_or_b64 exec, exec, s[4:5]
	v_cmp_lt_u32_e32 vcc, s14, v0
	s_waitcnt lgkmcnt(0)
	; wave barrier
	s_and_saveexec_b64 s[4:5], vcc
	s_cbranch_execz .LBB17_23
; %bb.27:                               ;   in Loop: Header=BB17_24 Depth=2
	v_mov_b32_e32 v8, s13
	ds_read_b32 v7, v6
	ds_read_b32 v8, v8
	s_waitcnt lgkmcnt(0)
	v_fmac_f32_e32 v4, v7, v8
	s_branch .LBB17_23
.LBB17_28:
	s_and_saveexec_b64 s[4:5], s[6:7]
	s_cbranch_execz .LBB17_36
; %bb.29:
	s_load_dwordx2 s[6:7], s[0:1], 0x58
	s_load_dword s4, s[0:1], 0x48
	s_waitcnt lgkmcnt(0)
	s_mul_i32 s0, s7, s2
	s_mul_hi_u32 s1, s6, s2
	s_add_i32 s1, s1, s0
	s_mul_i32 s0, s6, s2
	s_cmpk_lg_i32 s8, 0x7a
	s_mov_b64 s[2:3], -1
	s_cbranch_scc0 .LBB17_33
; %bb.30:
	s_add_i32 s6, s10, -1
	s_ashr_i32 s5, s4, 31
	s_mul_i32 s7, s5, s6
	s_mul_hi_u32 s8, s4, s6
	v_sub_u32_e32 v2, s6, v0
	s_add_i32 s7, s8, s7
	s_mul_i32 s6, s4, s6
	s_lshl_b64 s[2:3], s[0:1], 2
	s_lshl_b64 s[6:7], s[6:7], 2
	s_add_u32 s6, s2, s6
	s_addc_u32 s7, s3, s7
	s_lshl_b64 s[2:3], s[20:21], 2
	s_add_u32 s2, s6, s2
	s_addc_u32 s3, s7, s3
	s_add_u32 s2, s18, s2
	s_addc_u32 s3, s19, s3
	s_lshl_b64 s[6:7], s[4:5], 2
	v_lshlrev_b32_e32 v4, 2, v2
	v_lshlrev_b32_e32 v2, 2, v0
	v_mov_b32_e32 v3, 0
	s_sub_u32 s6, 0, s6
	v_lshl_add_u64 v[2:3], s[2:3], 0, v[2:3]
	s_mov_b64 s[2:3], 0
	s_subb_u32 s7, 0, s7
.LBB17_31:                              ; =>This Inner Loop Header: Depth=1
	ds_read_b32 v5, v4
	s_add_i32 s10, s10, -1
	v_cmp_le_u32_e32 vcc, s10, v0
	v_add_u32_e32 v4, s9, v4
	s_or_b64 s[2:3], vcc, s[2:3]
	s_waitcnt lgkmcnt(0)
	flat_store_dword v[2:3], v5
	v_lshl_add_u64 v[2:3], v[2:3], 0, s[6:7]
	s_andn2_b64 exec, exec, s[2:3]
	s_cbranch_execnz .LBB17_31
; %bb.32:
	s_or_b64 exec, exec, s[2:3]
	s_mov_b64 s[2:3], 0
.LBB17_33:
	s_and_b64 vcc, exec, s[2:3]
	s_cbranch_vccz .LBB17_36
; %bb.34:
	s_lshl_b64 s[2:3], s[20:21], 2
	s_add_u32 s2, s18, s2
	s_addc_u32 s3, s19, s3
	s_lshl_b64 s[0:1], s[0:1], 2
	s_add_u32 s0, s2, s0
	s_addc_u32 s1, s3, s1
	s_ashr_i32 s5, s4, 31
	v_lshlrev_b32_e32 v2, 2, v0
	v_mov_b32_e32 v3, 0
	v_lshl_add_u64 v[2:3], s[0:1], 0, v[2:3]
	v_add_u32_e32 v0, 1, v0
	s_lshl_b64 s[0:1], s[4:5], 2
	s_mov_b64 s[2:3], 0
.LBB17_35:                              ; =>This Inner Loop Header: Depth=1
	ds_read_b32 v4, v1
	v_add_u32_e32 v0, -1, v0
	v_cmp_eq_u32_e32 vcc, 0, v0
	v_add_u32_e32 v1, s9, v1
	s_or_b64 s[2:3], vcc, s[2:3]
	s_waitcnt lgkmcnt(0)
	flat_store_dword v[2:3], v4
	v_lshl_add_u64 v[2:3], v[2:3], 0, s[0:1]
	s_andn2_b64 exec, exec, s[2:3]
	s_cbranch_execnz .LBB17_35
.LBB17_36:
	s_endpgm
	.section	.rodata,"a",@progbits
	.p2align	6, 0x0
	.amdhsa_kernel _ZL26rocblas_trtri_small_kernelILi16EfPKPKfPKPfEv13rocblas_fill_17rocblas_diagonal_iT1_lillT2_lilli
		.amdhsa_group_segment_fixed_size 1024
		.amdhsa_private_segment_fixed_size 0
		.amdhsa_kernarg_size 100
		.amdhsa_user_sgpr_count 2
		.amdhsa_user_sgpr_dispatch_ptr 0
		.amdhsa_user_sgpr_queue_ptr 0
		.amdhsa_user_sgpr_kernarg_segment_ptr 1
		.amdhsa_user_sgpr_dispatch_id 0
		.amdhsa_user_sgpr_kernarg_preload_length 0
		.amdhsa_user_sgpr_kernarg_preload_offset 0
		.amdhsa_user_sgpr_private_segment_size 0
		.amdhsa_uses_dynamic_stack 0
		.amdhsa_enable_private_segment 0
		.amdhsa_system_sgpr_workgroup_id_x 1
		.amdhsa_system_sgpr_workgroup_id_y 0
		.amdhsa_system_sgpr_workgroup_id_z 1
		.amdhsa_system_sgpr_workgroup_info 0
		.amdhsa_system_vgpr_workitem_id 0
		.amdhsa_next_free_vgpr 9
		.amdhsa_next_free_sgpr 30
		.amdhsa_accum_offset 12
		.amdhsa_reserve_vcc 1
		.amdhsa_float_round_mode_32 0
		.amdhsa_float_round_mode_16_64 0
		.amdhsa_float_denorm_mode_32 3
		.amdhsa_float_denorm_mode_16_64 3
		.amdhsa_dx10_clamp 1
		.amdhsa_ieee_mode 1
		.amdhsa_fp16_overflow 0
		.amdhsa_tg_split 0
		.amdhsa_exception_fp_ieee_invalid_op 0
		.amdhsa_exception_fp_denorm_src 0
		.amdhsa_exception_fp_ieee_div_zero 0
		.amdhsa_exception_fp_ieee_overflow 0
		.amdhsa_exception_fp_ieee_underflow 0
		.amdhsa_exception_fp_ieee_inexact 0
		.amdhsa_exception_int_div_zero 0
	.end_amdhsa_kernel
	.section	.text._ZL26rocblas_trtri_small_kernelILi16EfPKPKfPKPfEv13rocblas_fill_17rocblas_diagonal_iT1_lillT2_lilli,"axG",@progbits,_ZL26rocblas_trtri_small_kernelILi16EfPKPKfPKPfEv13rocblas_fill_17rocblas_diagonal_iT1_lillT2_lilli,comdat
.Lfunc_end17:
	.size	_ZL26rocblas_trtri_small_kernelILi16EfPKPKfPKPfEv13rocblas_fill_17rocblas_diagonal_iT1_lillT2_lilli, .Lfunc_end17-_ZL26rocblas_trtri_small_kernelILi16EfPKPKfPKPfEv13rocblas_fill_17rocblas_diagonal_iT1_lillT2_lilli
                                        ; -- End function
	.set _ZL26rocblas_trtri_small_kernelILi16EfPKPKfPKPfEv13rocblas_fill_17rocblas_diagonal_iT1_lillT2_lilli.num_vgpr, 9
	.set _ZL26rocblas_trtri_small_kernelILi16EfPKPKfPKPfEv13rocblas_fill_17rocblas_diagonal_iT1_lillT2_lilli.num_agpr, 0
	.set _ZL26rocblas_trtri_small_kernelILi16EfPKPKfPKPfEv13rocblas_fill_17rocblas_diagonal_iT1_lillT2_lilli.numbered_sgpr, 30
	.set _ZL26rocblas_trtri_small_kernelILi16EfPKPKfPKPfEv13rocblas_fill_17rocblas_diagonal_iT1_lillT2_lilli.num_named_barrier, 0
	.set _ZL26rocblas_trtri_small_kernelILi16EfPKPKfPKPfEv13rocblas_fill_17rocblas_diagonal_iT1_lillT2_lilli.private_seg_size, 0
	.set _ZL26rocblas_trtri_small_kernelILi16EfPKPKfPKPfEv13rocblas_fill_17rocblas_diagonal_iT1_lillT2_lilli.uses_vcc, 1
	.set _ZL26rocblas_trtri_small_kernelILi16EfPKPKfPKPfEv13rocblas_fill_17rocblas_diagonal_iT1_lillT2_lilli.uses_flat_scratch, 0
	.set _ZL26rocblas_trtri_small_kernelILi16EfPKPKfPKPfEv13rocblas_fill_17rocblas_diagonal_iT1_lillT2_lilli.has_dyn_sized_stack, 0
	.set _ZL26rocblas_trtri_small_kernelILi16EfPKPKfPKPfEv13rocblas_fill_17rocblas_diagonal_iT1_lillT2_lilli.has_recursion, 0
	.set _ZL26rocblas_trtri_small_kernelILi16EfPKPKfPKPfEv13rocblas_fill_17rocblas_diagonal_iT1_lillT2_lilli.has_indirect_call, 0
	.section	.AMDGPU.csdata,"",@progbits
; Kernel info:
; codeLenInByte = 1236
; TotalNumSgprs: 36
; NumVgprs: 9
; NumAgprs: 0
; TotalNumVgprs: 9
; ScratchSize: 0
; MemoryBound: 0
; FloatMode: 240
; IeeeMode: 1
; LDSByteSize: 1024 bytes/workgroup (compile time only)
; SGPRBlocks: 4
; VGPRBlocks: 1
; NumSGPRsForWavesPerEU: 36
; NumVGPRsForWavesPerEU: 9
; AccumOffset: 12
; Occupancy: 8
; WaveLimiterHint : 0
; COMPUTE_PGM_RSRC2:SCRATCH_EN: 0
; COMPUTE_PGM_RSRC2:USER_SGPR: 2
; COMPUTE_PGM_RSRC2:TRAP_HANDLER: 0
; COMPUTE_PGM_RSRC2:TGID_X_EN: 1
; COMPUTE_PGM_RSRC2:TGID_Y_EN: 0
; COMPUTE_PGM_RSRC2:TGID_Z_EN: 1
; COMPUTE_PGM_RSRC2:TIDIG_COMP_CNT: 0
; COMPUTE_PGM_RSRC3_GFX90A:ACCUM_OFFSET: 2
; COMPUTE_PGM_RSRC3_GFX90A:TG_SPLIT: 0
	.section	.text._ZL29rocblas_trtri_diagonal_kernelILi16EfPKPKfPKPfEv13rocblas_fill_17rocblas_diagonal_iT1_lillT2_lilli,"axG",@progbits,_ZL29rocblas_trtri_diagonal_kernelILi16EfPKPKfPKPfEv13rocblas_fill_17rocblas_diagonal_iT1_lillT2_lilli,comdat
	.globl	_ZL29rocblas_trtri_diagonal_kernelILi16EfPKPKfPKPfEv13rocblas_fill_17rocblas_diagonal_iT1_lillT2_lilli ; -- Begin function _ZL29rocblas_trtri_diagonal_kernelILi16EfPKPKfPKPfEv13rocblas_fill_17rocblas_diagonal_iT1_lillT2_lilli
	.p2align	8
	.type	_ZL29rocblas_trtri_diagonal_kernelILi16EfPKPKfPKPfEv13rocblas_fill_17rocblas_diagonal_iT1_lillT2_lilli,@function
_ZL29rocblas_trtri_diagonal_kernelILi16EfPKPKfPKPfEv13rocblas_fill_17rocblas_diagonal_iT1_lillT2_lilli: ; @_ZL29rocblas_trtri_diagonal_kernelILi16EfPKPKfPKPfEv13rocblas_fill_17rocblas_diagonal_iT1_lillT2_lilli
; %bb.0:
	s_load_dwordx4 s[8:11], s[0:1], 0x0
	s_mov_b32 s4, s3
	s_waitcnt lgkmcnt(0)
	s_ashr_i32 s3, s10, 31
	s_lshr_b32 s3, s3, 27
	s_add_i32 s3, s10, s3
	s_ashr_i32 s3, s3, 5
	v_cvt_f32_u32_e32 v1, s3
	s_sub_i32 s5, 0, s3
	v_rcp_iflag_f32_e32 v1, v1
	s_nop 0
	v_mul_f32_e32 v1, 0x4f7ffffe, v1
	v_cvt_u32_f32_e32 v1, v1
	s_nop 0
	v_readfirstlane_b32 s6, v1
	s_mul_i32 s5, s5, s6
	s_mul_hi_u32 s5, s6, s5
	s_add_i32 s6, s6, s5
	s_mul_hi_u32 s5, s2, s6
	s_mul_i32 s6, s5, s3
	s_sub_i32 s6, s2, s6
	s_add_i32 s7, s5, 1
	s_sub_i32 s11, s6, s3
	s_cmp_ge_u32 s6, s3
	s_cselect_b32 s5, s7, s5
	s_cselect_b32 s6, s11, s6
	s_add_i32 s7, s5, 1
	s_cmp_ge_u32 s6, s3
	s_cselect_b32 s30, s7, s5
	s_mul_i32 s3, s30, s3
	s_sub_i32 s31, s2, s3
	s_lshl_b32 s2, s31, 4
	s_cmp_eq_u32 s10, s2
	s_mov_b32 s5, 0
	s_cbranch_scc1 .LBB18_89
; %bb.1:
	s_load_dwordx4 s[12:15], s[0:1], 0x10
	s_load_dwordx4 s[16:19], s[0:1], 0x30
	s_load_dwordx2 s[20:21], s[0:1], 0x40
	s_lshl_b64 s[4:5], s[4:5], 3
	v_mov_b32_e32 v2, v0
	s_waitcnt lgkmcnt(0)
	s_add_u32 s6, s12, s4
	s_addc_u32 s7, s13, s5
	s_add_u32 s4, s18, s4
	s_addc_u32 s5, s19, s5
	s_load_dwordx2 s[22:23], s[6:7], 0x0
	s_load_dwordx2 s[12:13], s[4:5], 0x0
	s_sub_i32 s29, s10, s2
	s_min_u32 s28, s29, 16
	s_lshl_b32 s24, s28, 1
	v_cmp_gt_u32_e64 s[6:7], s28, v0
	v_cmp_le_u32_e64 s[4:5], s28, v0
	v_cmp_gt_u32_e64 s[2:3], s24, v0
	v_cmp_le_u32_e32 vcc, s24, v0
	s_and_saveexec_b64 s[10:11], s[4:5]
	s_cbranch_execz .LBB18_7
; %bb.2:
                                        ; implicit-def: $vgpr2
	s_and_saveexec_b64 s[18:19], vcc
	s_xor_b64 s[18:19], exec, s[18:19]
; %bb.3:
	v_subrev_u32_e32 v2, s24, v0
; %bb.4:
	s_andn2_saveexec_b64 s[18:19], s[18:19]
; %bb.5:
	v_subrev_u32_e32 v2, s28, v0
; %bb.6:
	s_or_b64 exec, exec, s[18:19]
.LBB18_7:
	s_or_b64 exec, exec, s[10:11]
	s_load_dword s10, s[0:1], 0x20
	v_mov_b32_e32 v1, 0xc00
	v_mov_b32_e32 v3, 0x800
	v_cndmask_b32_e64 v1, 0, v1, s[2:3]
	v_cndmask_b32_e64 v8, v1, v3, s[6:7]
	s_waitcnt lgkmcnt(0)
	s_ashr_i32 s11, s10, 31
	s_lshl_b64 s[6:7], s[10:11], 5
	s_add_u32 s6, s6, 32
	s_addc_u32 s7, s7, 0
	s_mul_i32 s7, s7, s31
	s_mul_hi_u32 s18, s6, s31
	s_add_i32 s7, s18, s7
	s_mul_i32 s17, s17, s30
	s_mul_hi_u32 s18, s16, s30
	s_mul_i32 s6, s6, s31
	s_add_i32 s17, s18, s17
	s_mul_i32 s16, s16, s30
	s_and_saveexec_b64 s[18:19], vcc
	s_xor_b64 s[18:19], exec, s[18:19]
	s_cbranch_execz .LBB18_17
; %bb.8:
	s_mul_i32 s24, s28, 3
	v_cmp_gt_u32_e32 vcc, s24, v0
	s_and_saveexec_b64 s[24:25], vcc
	s_cbranch_execz .LBB18_16
; %bb.9:
	s_cmpk_eq_i32 s8, 0x7a
	s_mov_b64 s[26:27], -1
	s_cbranch_scc1 .LBB18_13
; %bb.10:
	s_add_i32 s26, s28, -1
	s_mul_i32 s27, s28, s26
	s_lshl_b32 s35, s28, 2
	s_add_i32 s33, s28, 1
	s_lshl_b32 s27, s27, 2
	v_lshlrev_b32_e32 v1, 2, v2
	s_sub_i32 s34, 0, s35
	s_lshl_b64 s[36:37], s[16:17], 2
	s_lshl_b64 s[38:39], s[6:7], 2
	v_add3_u32 v1, s27, v1, v8
	s_mov_b32 s27, 0
	s_add_u32 s36, s36, s38
	s_addc_u32 s37, s37, s39
	s_lshl_b64 s[26:27], s[26:27], 2
	s_add_u32 s26, s35, s26
	s_addc_u32 s27, 0, s27
	s_mul_i32 s35, s26, s11
	s_mul_hi_u32 s38, s26, s10
	s_add_i32 s35, s38, s35
	s_mul_i32 s27, s27, s10
	s_add_i32 s35, s35, s27
	s_mul_i32 s26, s26, s10
	s_add_u32 s36, s36, s26
	s_addc_u32 s35, s37, s35
	s_lshl_b64 s[26:27], s[14:15], 2
	s_add_u32 s26, s36, s26
	s_addc_u32 s27, s35, s27
	s_add_u32 s26, s22, s26
	v_ashrrev_i32_e32 v3, 31, v2
	s_addc_u32 s27, s23, s27
	v_lshl_add_u64 v[4:5], v[2:3], 2, s[26:27]
	s_lshl_b64 s[26:27], s[10:11], 2
	s_sub_u32 s26, 0, s26
	s_subb_u32 s27, 0, s27
.LBB18_11:                              ; =>This Inner Loop Header: Depth=1
	flat_load_dword v3, v[4:5]
	s_add_i32 s33, s33, -1
	v_lshl_add_u64 v[4:5], v[4:5], 0, s[26:27]
	s_cmp_gt_u32 s33, 1
	s_waitcnt vmcnt(0) lgkmcnt(0)
	ds_write_b32 v1, v3
	v_add_u32_e32 v1, s34, v1
	s_cbranch_scc1 .LBB18_11
; %bb.12:
	s_mov_b64 s[26:27], 0
.LBB18_13:
	s_and_b64 vcc, exec, s[26:27]
	s_cbranch_vccz .LBB18_16
; %bb.14:
	s_lshl_b64 s[26:27], s[14:15], 2
	s_add_u32 s33, s22, s26
	s_addc_u32 s34, s23, s27
	s_lshl_b64 s[26:27], s[6:7], 2
	s_add_u32 s33, s33, s26
	s_addc_u32 s34, s34, s27
	s_lshl_b64 s[26:27], s[16:17], 2
	s_add_u32 s26, s33, s26
	v_add_u32_e32 v4, s28, v2
	s_addc_u32 s27, s34, s27
	v_ashrrev_i32_e32 v5, 31, v4
	v_lshl_add_u64 v[4:5], v[4:5], 2, s[26:27]
	v_lshl_add_u32 v1, v2, 2, v8
	s_lshl_b32 s33, s28, 2
	s_lshl_b64 s[26:27], s[10:11], 2
	s_mov_b32 s34, s28
.LBB18_15:                              ; =>This Inner Loop Header: Depth=1
	flat_load_dword v3, v[4:5]
	s_add_i32 s34, s34, -1
	v_lshl_add_u64 v[4:5], v[4:5], 0, s[26:27]
	s_cmp_eq_u32 s34, 0
	s_waitcnt vmcnt(0) lgkmcnt(0)
	ds_write_b32 v1, v3
	v_add_u32_e32 v1, s33, v1
	s_cbranch_scc0 .LBB18_15
.LBB18_16:
	s_or_b64 exec, exec, s[24:25]
.LBB18_17:
	s_andn2_saveexec_b64 s[18:19], s[18:19]
	s_cbranch_execz .LBB18_31
; %bb.18:
	v_mov_b64_e32 v[4:5], 0
	s_and_saveexec_b64 s[24:25], s[4:5]
	s_cbranch_execnz .LBB18_21
; %bb.19:
	s_or_b64 exec, exec, s[24:25]
	s_cmpk_lg_i32 s8, 0x7a
	s_mov_b64 s[24:25], -1
	s_cbranch_scc1 .LBB18_22
.LBB18_20:
	s_and_b64 vcc, exec, s[24:25]
	s_cbranch_vccnz .LBB18_27
	s_branch .LBB18_31
.LBB18_21:
	s_add_u32 s26, s10, 1
	s_addc_u32 s27, s11, 0
	s_mul_i32 s27, s27, s28
	s_mul_hi_u32 s33, s26, s28
	s_add_i32 s27, s33, s27
	s_mul_i32 s26, s26, s28
	v_mov_b64_e32 v[4:5], s[26:27]
	s_or_b64 exec, exec, s[24:25]
	s_cmpk_lg_i32 s8, 0x7a
	s_mov_b64 s[24:25], -1
	s_cbranch_scc0 .LBB18_20
.LBB18_22:
	s_add_i32 s33, s28, -1
	s_lshl_b64 s[24:25], s[16:17], 2
	s_lshl_b64 s[26:27], s[6:7], 2
	s_add_u32 s26, s24, s26
	s_addc_u32 s27, s25, s27
	s_mul_i32 s24, s11, s33
	s_mul_hi_u32 s25, s10, s33
	s_add_i32 s25, s25, s24
	s_mul_i32 s24, s10, s33
	s_lshl_b64 s[24:25], s[24:25], 2
	s_add_u32 s26, s26, s24
	s_addc_u32 s27, s27, s25
	s_lshl_b64 s[24:25], s[14:15], 2
	s_add_u32 s24, s24, s26
	s_addc_u32 s25, s25, s27
	v_ashrrev_i32_e32 v3, 31, v2
	v_lshl_add_u64 v[6:7], v[4:5], 2, s[24:25]
	s_lshl_b64 s[24:25], s[10:11], 2
	v_sub_u32_e32 v1, s33, v2
	v_lshl_add_u64 v[6:7], v[2:3], 2, v[6:7]
	s_sub_u32 s24, 0, s24
	v_lshl_add_u32 v1, v1, 2, v8
	v_lshl_add_u64 v[6:7], s[22:23], 0, v[6:7]
	s_subb_u32 s25, 0, s25
	s_lshl_b32 s33, s28, 2
	s_mov_b32 s34, s28
	s_branch .LBB18_24
.LBB18_23:                              ;   in Loop: Header=BB18_24 Depth=1
	s_or_b64 exec, exec, s[26:27]
	s_waitcnt vmcnt(0) lgkmcnt(0)
	ds_write_b32 v1, v3
	v_lshl_add_u64 v[6:7], v[6:7], 0, s[24:25]
	s_cmp_lt_i32 s34, 1
	v_add_u32_e32 v1, s33, v1
	s_cbranch_scc1 .LBB18_26
.LBB18_24:                              ; =>This Inner Loop Header: Depth=1
	s_add_i32 s34, s34, -1
	v_cmp_ge_i32_e32 vcc, s34, v2
	v_mov_b32_e32 v3, 0
	s_and_saveexec_b64 s[26:27], vcc
	s_cbranch_execz .LBB18_23
; %bb.25:                               ;   in Loop: Header=BB18_24 Depth=1
	flat_load_dword v3, v[6:7]
	s_branch .LBB18_23
.LBB18_26:
	s_branch .LBB18_31
.LBB18_27:
	s_lshl_b64 s[16:17], s[16:17], 2
	s_lshl_b64 s[6:7], s[6:7], 2
	s_add_u32 s16, s16, s6
	s_addc_u32 s17, s17, s7
	s_lshl_b64 s[6:7], s[14:15], 2
	s_add_u32 s6, s6, s16
	s_addc_u32 s7, s7, s17
	v_ashrrev_i32_e32 v3, 31, v2
	v_lshl_add_u64 v[4:5], v[4:5], 2, s[6:7]
	v_lshl_add_u64 v[4:5], v[2:3], 2, v[4:5]
	v_lshl_add_u32 v1, v2, 2, v8
	v_lshl_add_u64 v[4:5], s[22:23], 0, v[4:5]
	s_lshl_b64 s[6:7], s[10:11], 2
	s_lshl_b32 s14, s28, 2
	s_mov_b32 s15, 0
	s_branch .LBB18_29
.LBB18_28:                              ;   in Loop: Header=BB18_29 Depth=1
	s_or_b64 exec, exec, s[10:11]
	s_add_i32 s15, s15, 1
	s_waitcnt vmcnt(0) lgkmcnt(0)
	ds_write_b32 v1, v3
	v_lshl_add_u64 v[4:5], v[4:5], 0, s[6:7]
	s_cmp_eq_u32 s28, s15
	v_add_u32_e32 v1, s14, v1
	s_cbranch_scc1 .LBB18_31
.LBB18_29:                              ; =>This Inner Loop Header: Depth=1
	v_cmp_le_i32_e32 vcc, s15, v2
	v_mov_b32_e32 v3, 0
	s_and_saveexec_b64 s[10:11], vcc
	s_cbranch_execz .LBB18_28
; %bb.30:                               ;   in Loop: Header=BB18_29 Depth=1
	flat_load_dword v3, v[4:5]
	s_branch .LBB18_28
.LBB18_31:
	s_or_b64 exec, exec, s[18:19]
	s_waitcnt lgkmcnt(0)
	s_barrier
	s_and_saveexec_b64 s[6:7], s[2:3]
	s_cbranch_execz .LBB18_37
; %bb.32:
	s_add_i32 s10, s28, 1
	v_mul_i32_i24_e32 v1, s10, v2
	s_cmpk_eq_i32 s9, 0x84
	v_lshl_add_u32 v1, v1, 2, v8
	v_mov_b32_e32 v4, 1.0
	s_cbranch_scc1 .LBB18_36
; %bb.33:
	ds_read_b32 v3, v1
	v_mov_b32_e32 v4, 1.0
	s_waitcnt lgkmcnt(0)
	v_cmp_neq_f32_e32 vcc, 0, v3
	s_and_saveexec_b64 s[10:11], vcc
	s_cbranch_execz .LBB18_35
; %bb.34:
	v_div_scale_f32 v4, s[14:15], v3, v3, 1.0
	v_rcp_f32_e32 v5, v4
	v_div_scale_f32 v6, vcc, 1.0, v3, 1.0
	v_fma_f32 v7, -v4, v5, 1.0
	v_fmac_f32_e32 v5, v7, v5
	v_mul_f32_e32 v7, v6, v5
	v_fma_f32 v9, -v4, v7, v6
	v_fmac_f32_e32 v7, v9, v5
	v_fma_f32 v4, -v4, v7, v6
	v_div_fmas_f32 v4, v4, v5, v7
	v_div_fixup_f32 v4, v4, v3, 1.0
.LBB18_35:
	s_or_b64 exec, exec, s[10:11]
.LBB18_36:
	ds_write_b32 v1, v4
.LBB18_37:
	s_or_b64 exec, exec, s[6:7]
	s_waitcnt lgkmcnt(0)
	s_barrier
	s_and_saveexec_b64 s[6:7], s[2:3]
	s_cbranch_execz .LBB18_49
; %bb.38:
	s_add_i32 s9, s28, 1
	v_lshlrev_b32_e32 v5, 2, v2
	v_mul_i32_i24_e32 v3, s9, v2
	s_lshl_b32 s9, s28, 2
	v_add_u32_e32 v1, v8, v5
	v_lshl_add_u32 v3, v3, 2, v8
	v_add_u32_e32 v4, 4, v8
	s_add_i32 s14, s9, 4
	v_add3_u32 v5, v5, s9, v8
	s_mov_b32 s15, 0
	s_branch .LBB18_40
.LBB18_39:                              ;   in Loop: Header=BB18_40 Depth=1
	v_add_u32_e32 v4, s14, v4
	s_cmp_eq_u32 s15, s28
	v_add_u32_e32 v5, s9, v5
	s_cbranch_scc1 .LBB18_49
.LBB18_40:                              ; =>This Loop Header: Depth=1
                                        ;     Child Loop BB18_45 Depth 2
	v_cmp_lt_i32_e32 vcc, s15, v2
	s_mul_i32 s16, s15, s28
	v_mov_b32_e32 v6, 0
	s_and_saveexec_b64 s[10:11], vcc
	s_cbranch_execz .LBB18_42
; %bb.41:                               ;   in Loop: Header=BB18_40 Depth=1
	s_lshl_b32 s17, s15, 2
	s_lshl_b32 s18, s16, 2
	s_add_i32 s17, s18, s17
	v_add_u32_e32 v6, s17, v8
	v_add_u32_e32 v7, s18, v1
	ds_read_b32 v7, v7
	ds_read_b32 v6, v6
	s_waitcnt lgkmcnt(0)
	v_fma_f32 v6, v7, v6, 0
.LBB18_42:                              ;   in Loop: Header=BB18_40 Depth=1
	s_or_b64 exec, exec, s[10:11]
	s_add_i32 s15, s15, 1
	s_cmp_ge_u32 s15, s28
	s_cbranch_scc1 .LBB18_39
; %bb.43:                               ;   in Loop: Header=BB18_40 Depth=1
	v_lshl_add_u32 v7, s16, 2, v1
	v_mov_b32_e32 v9, v5
	v_mov_b32_e32 v10, v4
	s_mov_b32 s16, s15
	s_branch .LBB18_45
.LBB18_44:                              ;   in Loop: Header=BB18_45 Depth=2
	s_or_b64 exec, exec, s[10:11]
	s_add_i32 s16, s16, 1
	v_add_u32_e32 v10, 4, v10
	s_cmp_eq_u32 s28, s16
	v_add_u32_e32 v9, s9, v9
	s_cbranch_scc1 .LBB18_39
.LBB18_45:                              ;   Parent Loop BB18_40 Depth=1
                                        ; =>  This Inner Loop Header: Depth=2
	v_cmp_eq_u32_e32 vcc, s16, v2
	s_and_saveexec_b64 s[10:11], vcc
	s_cbranch_execz .LBB18_47
; %bb.46:                               ;   in Loop: Header=BB18_45 Depth=2
	ds_read_b32 v11, v3
	s_waitcnt lgkmcnt(0)
	v_mul_f32_e64 v11, -v6, v11
	ds_write_b32 v7, v11
.LBB18_47:                              ;   in Loop: Header=BB18_45 Depth=2
	s_or_b64 exec, exec, s[10:11]
	v_cmp_lt_i32_e32 vcc, s16, v2
	s_and_saveexec_b64 s[10:11], vcc
	s_cbranch_execz .LBB18_44
; %bb.48:                               ;   in Loop: Header=BB18_45 Depth=2
	ds_read_b32 v11, v9
	ds_read_b32 v12, v10
	s_waitcnt lgkmcnt(0)
	v_fmac_f32_e32 v6, v11, v12
	s_branch .LBB18_44
.LBB18_49:
	s_or_b64 exec, exec, s[6:7]
	s_and_b32 s6, s28, 0xffff
	v_cvt_f32_u32_e32 v1, s6
	v_cvt_f32_ubyte0_e32 v3, v0
	s_cmpk_lg_i32 s8, 0x7a
	s_cselect_b64 s[8:9], -1, 0
	v_rcp_iflag_f32_e32 v4, v1
	s_mul_i32 s6, s28, s28
	v_cmp_gt_u32_e64 s[6:7], s6, v0
	s_mov_b64 s[10:11], -1
	v_mul_f32_e32 v4, v3, v4
	v_trunc_f32_e32 v4, v4
	v_cvt_u32_f32_e32 v5, v4
	v_fma_f32 v3, -v4, v1, v3
	v_cmp_ge_f32_e64 vcc, |v3|, v1
	s_waitcnt lgkmcnt(0)
	s_barrier
	v_addc_co_u32_e32 v1, vcc, 0, v5, vcc
	v_and_b32_e32 v4, 0xffff, v1
	v_mul_lo_u16_e32 v1, s28, v1
	v_sub_u16_e32 v3, v0, v1
	s_and_b64 vcc, exec, s[8:9]
	s_cbranch_vccz .LBB18_55
; %bb.50:
	s_and_saveexec_b64 s[10:11], s[6:7]
	s_cbranch_execz .LBB18_54
; %bb.51:
	v_lshlrev_b32_e32 v0, 6, v4
	v_lshlrev_b32_e32 v5, 2, v3
	v_sub_u32_e32 v6, 0xffc, v0
	v_mov_b32_e32 v1, 0
	s_mov_b32 s16, -1
	s_mov_b64 s[14:15], 0
.LBB18_52:                              ; =>This Inner Loop Header: Depth=1
	ds_read_b32 v7, v5
	ds_read_b32 v9, v6
	s_add_i32 s16, s16, 1
	v_cmp_ge_u32_e32 vcc, s16, v4
	v_add_u32_e32 v6, -4, v6
	v_add_u32_e32 v5, 64, v5
	s_or_b64 s[14:15], vcc, s[14:15]
	s_waitcnt lgkmcnt(0)
	v_fmac_f32_e32 v1, v7, v9
	s_andn2_b64 exec, exec, s[14:15]
	s_cbranch_execnz .LBB18_52
; %bb.53:
	s_or_b64 exec, exec, s[14:15]
	v_lshl_add_u32 v0, v3, 2, v0
	ds_write_b32 v0, v1 offset:1024
.LBB18_54:
	s_or_b64 exec, exec, s[10:11]
	s_mov_b64 s[10:11], 0
.LBB18_55:
	s_andn2_b64 vcc, exec, s[10:11]
	s_cbranch_vccnz .LBB18_65
; %bb.56:
	s_and_saveexec_b64 s[10:11], s[6:7]
	s_cbranch_execz .LBB18_64
; %bb.57:
	v_cmp_lt_u16_e32 vcc, 15, v4
	v_lshlrev_b32_e32 v0, 6, v4
	s_and_saveexec_b64 s[14:15], vcc
	s_xor_b64 s[14:15], exec, s[14:15]
; %bb.58:
	v_lshlrev_b32_e32 v0, 6, v4
; %bb.59:
	s_or_saveexec_b64 s[14:15], s[14:15]
	v_mov_b32_e32 v1, 0
	s_xor_b64 exec, exec, s[14:15]
	s_cbranch_execz .LBB18_63
; %bb.60:
	s_movk_i32 s16, 0x44
	v_mov_b32_e32 v1, 0x800
	v_add_u32_e32 v5, -1, v4
	v_mad_u32_u24 v6, v4, s16, v1
	v_lshl_add_u32 v7, v3, 2, v0
	v_mov_b32_e32 v1, 0
	s_mov_b64 s[16:17], 0
.LBB18_61:                              ; =>This Inner Loop Header: Depth=1
	ds_read_b32 v9, v7
	ds_read_b32 v10, v6
	v_add_u32_e32 v5, 1, v5
	v_cmp_lt_u32_e32 vcc, 14, v5
	v_add_u32_e32 v6, 4, v6
	v_add_u32_e32 v7, 64, v7
	s_or_b64 s[16:17], vcc, s[16:17]
	s_waitcnt lgkmcnt(0)
	v_fmac_f32_e32 v1, v9, v10
	s_andn2_b64 exec, exec, s[16:17]
	s_cbranch_execnz .LBB18_61
; %bb.62:
	s_or_b64 exec, exec, s[16:17]
.LBB18_63:
	s_or_b64 exec, exec, s[14:15]
	v_lshl_add_u32 v0, v3, 2, v0
	ds_write_b32 v0, v1 offset:1024
.LBB18_64:
	s_or_b64 exec, exec, s[10:11]
.LBB18_65:
	s_load_dword s10, s[0:1], 0x48
	s_load_dwordx2 s[18:19], s[0:1], 0x58
	s_lshl_b64 s[14:15], s[20:21], 2
	s_waitcnt lgkmcnt(0)
	s_barrier
	s_ashr_i32 s11, s10, 31
	s_add_u32 s20, s12, s14
	s_addc_u32 s21, s13, s15
	s_lshl_b64 s[0:1], s[10:11], 5
	s_add_u32 s0, s0, 32
	s_addc_u32 s1, s1, 0
	s_mul_hi_u32 s16, s0, s31
	s_mul_i32 s1, s1, s31
	s_add_i32 s1, s16, s1
	s_mul_i32 s0, s0, s31
	s_lshl_b64 s[16:17], s[0:1], 2
	s_add_u32 s20, s20, s16
	s_mul_i32 s0, s19, s30
	s_mul_hi_u32 s1, s18, s30
	s_addc_u32 s21, s21, s17
	s_add_i32 s1, s1, s0
	s_mul_i32 s0, s18, s30
	s_lshl_b64 s[18:19], s[0:1], 2
	s_add_u32 s0, s20, s18
	s_addc_u32 s1, s21, s19
	s_mov_b64 s[20:21], -1
	s_and_b64 vcc, exec, s[8:9]
	s_cbranch_vccnz .LBB18_68
; %bb.66:
	s_andn2_b64 vcc, exec, s[20:21]
	s_cbranch_vccz .LBB18_73
.LBB18_67:
	s_and_saveexec_b64 s[6:7], s[2:3]
	s_cbranch_execnz .LBB18_78
	s_branch .LBB18_89
.LBB18_68:
	s_and_saveexec_b64 s[20:21], s[6:7]
	s_cbranch_execz .LBB18_72
; %bb.69:
	v_mul_u32_u24_e32 v0, s28, v4
	v_lshlrev_b32_e32 v5, 2, v0
	v_lshlrev_b32_e32 v0, 2, v3
	s_movk_i32 s22, 0x400
	v_add3_u32 v6, v5, v0, s22
	s_lshl_b32 s22, s28, 2
	v_sub_u32_e32 v5, s22, v0
	v_mul_i32_i24_e32 v5, s28, v5
	v_sub_u32_e32 v5, v5, v0
	v_add_u32_e32 v1, -1, v3
	v_add_u32_e32 v7, 0x7fc, v5
	s_sub_i32 s24, 0, s22
	v_mov_b32_e32 v5, 0
	s_mov_b64 s[22:23], 0
.LBB18_70:                              ; =>This Inner Loop Header: Depth=1
	ds_read_b32 v9, v7
	ds_read_b32 v10, v6
	v_add_u32_e32 v1, 1, v1
	v_cmp_lt_u32_e32 vcc, 14, v1
	v_add_u32_e32 v6, 4, v6
	v_add_u32_e32 v7, s24, v7
	s_or_b64 s[22:23], vcc, s[22:23]
	s_waitcnt lgkmcnt(0)
	v_fma_f32 v5, -v9, v10, v5
	s_andn2_b64 exec, exec, s[22:23]
	s_cbranch_execnz .LBB18_70
; %bb.71:
	s_or_b64 exec, exec, s[22:23]
	s_mul_hi_i32 s23, s28, s10
	s_mul_i32 s22, s28, s10
	s_lshl_b64 s[22:23], s[22:23], 2
	s_add_u32 s22, s0, s22
	s_addc_u32 s23, s1, s23
	v_mov_b32_e32 v1, 0
	v_mad_i64_i32 v[6:7], s[24:25], v4, s10, 0
	v_lshl_add_u64 v[0:1], s[22:23], 0, v[0:1]
	v_lshl_add_u64 v[0:1], v[6:7], 2, v[0:1]
	flat_store_dword v[0:1], v5
.LBB18_72:
	s_or_b64 exec, exec, s[20:21]
	s_cbranch_execnz .LBB18_67
.LBB18_73:
	s_and_saveexec_b64 s[20:21], s[6:7]
	s_cbranch_execz .LBB18_77
; %bb.74:
	v_mov_b32_e32 v0, 0xc00
	v_lshl_add_u32 v1, v3, 2, v0
	v_mul_u32_u24_e32 v0, s28, v4
	v_mov_b32_e32 v5, 0x400
	v_lshl_add_u32 v5, v0, 2, v5
	s_lshl_b32 s22, s28, 2
	v_mov_b32_e32 v0, 0
	s_mov_b32 s23, -1
	s_mov_b64 s[6:7], 0
.LBB18_75:                              ; =>This Inner Loop Header: Depth=1
	ds_read_b32 v6, v1
	ds_read_b32 v7, v5
	s_add_i32 s23, s23, 1
	v_cmp_ge_u32_e32 vcc, s23, v3
	v_add_u32_e32 v5, 4, v5
	v_add_u32_e32 v1, s22, v1
	s_or_b64 s[6:7], vcc, s[6:7]
	s_waitcnt lgkmcnt(0)
	v_fma_f32 v0, -v6, v7, v0
	s_andn2_b64 exec, exec, s[6:7]
	s_cbranch_execnz .LBB18_75
; %bb.76:
	s_or_b64 exec, exec, s[6:7]
	v_mad_i64_i32 v[4:5], s[6:7], v4, s10, 0
	v_lshl_add_u64 v[4:5], v[4:5], 2, s[0:1]
	v_add_lshl_u32 v6, s28, v3, 2
	v_mov_b32_e32 v7, 0
	v_lshl_add_u64 v[4:5], v[4:5], 0, v[6:7]
	flat_store_dword v[4:5], v0
.LBB18_77:
	s_or_b64 exec, exec, s[20:21]
	s_and_saveexec_b64 s[6:7], s[2:3]
	s_cbranch_execz .LBB18_89
.LBB18_78:
	v_mov_b64_e32 v[0:1], 0
	s_and_saveexec_b64 s[2:3], s[4:5]
	s_cbranch_execnz .LBB18_81
; %bb.79:
	s_or_b64 exec, exec, s[2:3]
	s_mov_b64 s[2:3], -1
	s_and_b64 vcc, exec, s[8:9]
	s_cbranch_vccnz .LBB18_82
.LBB18_80:
	s_andn2_b64 vcc, exec, s[2:3]
	s_cbranch_vccz .LBB18_86
	s_branch .LBB18_89
.LBB18_81:
	s_add_u32 s4, s10, 1
	s_addc_u32 s5, s11, 0
	s_mul_i32 s5, s5, s28
	s_mul_hi_u32 s6, s4, s28
	s_add_i32 s5, s6, s5
	s_mul_i32 s4, s4, s28
	v_mov_b64_e32 v[0:1], s[4:5]
	s_or_b64 exec, exec, s[2:3]
	s_mov_b64 s[2:3], -1
	s_and_b64 vcc, exec, s[8:9]
	s_cbranch_vccz .LBB18_80
.LBB18_82:
	v_cmp_gt_i32_e32 vcc, s28, v2
	s_and_saveexec_b64 s[2:3], vcc
	s_cbranch_execz .LBB18_85
; %bb.83:
	s_cmp_lt_u32 s29, 16
	s_cselect_b32 s5, s29, 16
	s_cselect_b32 s4, 0, 0
	s_add_u32 s6, s5, -1
	s_addc_u32 s4, s4, -1
	s_mul_i32 s5, s6, s11
	s_mul_hi_u32 s7, s6, s10
	s_add_i32 s5, s7, s5
	s_mul_i32 s4, s4, s10
	s_add_i32 s5, s5, s4
	s_mul_i32 s4, s6, s10
	s_lshl_b64 s[4:5], s[4:5], 2
	s_add_u32 s4, s4, s18
	s_addc_u32 s5, s5, s19
	s_add_u32 s4, s4, s16
	s_addc_u32 s5, s5, s17
	s_add_u32 s4, s14, s4
	v_xad_u32 v3, v2, -1, s28
	s_addc_u32 s5, s15, s5
	v_lshl_add_u32 v6, v3, 2, v8
	v_ashrrev_i32_e32 v3, 31, v2
	v_lshl_add_u64 v[4:5], v[0:1], 2, s[4:5]
	s_lshl_b64 s[6:7], s[10:11], 2
	v_lshl_add_u64 v[4:5], v[2:3], 2, v[4:5]
	s_sub_u32 s6, 0, s6
	v_lshl_add_u64 v[4:5], s[12:13], 0, v[4:5]
	s_mov_b64 s[4:5], 0
	s_subb_u32 s7, 0, s7
	s_lshl_b32 s8, s28, 2
	s_mov_b32 s9, s28
.LBB18_84:                              ; =>This Inner Loop Header: Depth=1
	ds_read_b32 v3, v6
	s_add_i32 s9, s9, -1
	v_cmp_le_i32_e32 vcc, s9, v2
	v_add_u32_e32 v6, s8, v6
	s_or_b64 s[4:5], vcc, s[4:5]
	s_waitcnt lgkmcnt(0)
	flat_store_dword v[4:5], v3
	v_lshl_add_u64 v[4:5], v[4:5], 0, s[6:7]
	s_andn2_b64 exec, exec, s[4:5]
	s_cbranch_execnz .LBB18_84
.LBB18_85:
	s_or_b64 exec, exec, s[2:3]
	s_cbranch_execnz .LBB18_89
.LBB18_86:
	v_cmp_lt_i32_e32 vcc, -1, v2
	s_and_b64 exec, exec, vcc
	s_cbranch_execz .LBB18_89
; %bb.87:
	v_mov_b32_e32 v3, 0
	v_lshl_add_u64 v[0:1], v[0:1], 2, s[0:1]
	v_lshl_add_u32 v4, v2, 2, v8
	v_lshl_add_u64 v[0:1], v[2:3], 2, v[0:1]
	v_add_u32_e32 v2, 1, v2
	s_lshl_b64 s[0:1], s[10:11], 2
	s_lshl_b32 s4, s28, 2
	s_mov_b64 s[2:3], 0
.LBB18_88:                              ; =>This Inner Loop Header: Depth=1
	ds_read_b32 v3, v4
	v_add_u32_e32 v2, -1, v2
	v_cmp_eq_u32_e32 vcc, 0, v2
	v_add_u32_e32 v4, s4, v4
	s_or_b64 s[2:3], vcc, s[2:3]
	s_waitcnt lgkmcnt(0)
	flat_store_dword v[0:1], v3
	v_lshl_add_u64 v[0:1], v[0:1], 0, s[0:1]
	s_andn2_b64 exec, exec, s[2:3]
	s_cbranch_execnz .LBB18_88
.LBB18_89:
	s_endpgm
	.section	.rodata,"a",@progbits
	.p2align	6, 0x0
	.amdhsa_kernel _ZL29rocblas_trtri_diagonal_kernelILi16EfPKPKfPKPfEv13rocblas_fill_17rocblas_diagonal_iT1_lillT2_lilli
		.amdhsa_group_segment_fixed_size 4096
		.amdhsa_private_segment_fixed_size 0
		.amdhsa_kernarg_size 100
		.amdhsa_user_sgpr_count 2
		.amdhsa_user_sgpr_dispatch_ptr 0
		.amdhsa_user_sgpr_queue_ptr 0
		.amdhsa_user_sgpr_kernarg_segment_ptr 1
		.amdhsa_user_sgpr_dispatch_id 0
		.amdhsa_user_sgpr_kernarg_preload_length 0
		.amdhsa_user_sgpr_kernarg_preload_offset 0
		.amdhsa_user_sgpr_private_segment_size 0
		.amdhsa_uses_dynamic_stack 0
		.amdhsa_enable_private_segment 0
		.amdhsa_system_sgpr_workgroup_id_x 1
		.amdhsa_system_sgpr_workgroup_id_y 0
		.amdhsa_system_sgpr_workgroup_id_z 1
		.amdhsa_system_sgpr_workgroup_info 0
		.amdhsa_system_vgpr_workitem_id 0
		.amdhsa_next_free_vgpr 13
		.amdhsa_next_free_sgpr 40
		.amdhsa_accum_offset 16
		.amdhsa_reserve_vcc 1
		.amdhsa_float_round_mode_32 0
		.amdhsa_float_round_mode_16_64 0
		.amdhsa_float_denorm_mode_32 3
		.amdhsa_float_denorm_mode_16_64 3
		.amdhsa_dx10_clamp 1
		.amdhsa_ieee_mode 1
		.amdhsa_fp16_overflow 0
		.amdhsa_tg_split 0
		.amdhsa_exception_fp_ieee_invalid_op 0
		.amdhsa_exception_fp_denorm_src 0
		.amdhsa_exception_fp_ieee_div_zero 0
		.amdhsa_exception_fp_ieee_overflow 0
		.amdhsa_exception_fp_ieee_underflow 0
		.amdhsa_exception_fp_ieee_inexact 0
		.amdhsa_exception_int_div_zero 0
	.end_amdhsa_kernel
	.section	.text._ZL29rocblas_trtri_diagonal_kernelILi16EfPKPKfPKPfEv13rocblas_fill_17rocblas_diagonal_iT1_lillT2_lilli,"axG",@progbits,_ZL29rocblas_trtri_diagonal_kernelILi16EfPKPKfPKPfEv13rocblas_fill_17rocblas_diagonal_iT1_lillT2_lilli,comdat
.Lfunc_end18:
	.size	_ZL29rocblas_trtri_diagonal_kernelILi16EfPKPKfPKPfEv13rocblas_fill_17rocblas_diagonal_iT1_lillT2_lilli, .Lfunc_end18-_ZL29rocblas_trtri_diagonal_kernelILi16EfPKPKfPKPfEv13rocblas_fill_17rocblas_diagonal_iT1_lillT2_lilli
                                        ; -- End function
	.set _ZL29rocblas_trtri_diagonal_kernelILi16EfPKPKfPKPfEv13rocblas_fill_17rocblas_diagonal_iT1_lillT2_lilli.num_vgpr, 13
	.set _ZL29rocblas_trtri_diagonal_kernelILi16EfPKPKfPKPfEv13rocblas_fill_17rocblas_diagonal_iT1_lillT2_lilli.num_agpr, 0
	.set _ZL29rocblas_trtri_diagonal_kernelILi16EfPKPKfPKPfEv13rocblas_fill_17rocblas_diagonal_iT1_lillT2_lilli.numbered_sgpr, 40
	.set _ZL29rocblas_trtri_diagonal_kernelILi16EfPKPKfPKPfEv13rocblas_fill_17rocblas_diagonal_iT1_lillT2_lilli.num_named_barrier, 0
	.set _ZL29rocblas_trtri_diagonal_kernelILi16EfPKPKfPKPfEv13rocblas_fill_17rocblas_diagonal_iT1_lillT2_lilli.private_seg_size, 0
	.set _ZL29rocblas_trtri_diagonal_kernelILi16EfPKPKfPKPfEv13rocblas_fill_17rocblas_diagonal_iT1_lillT2_lilli.uses_vcc, 1
	.set _ZL29rocblas_trtri_diagonal_kernelILi16EfPKPKfPKPfEv13rocblas_fill_17rocblas_diagonal_iT1_lillT2_lilli.uses_flat_scratch, 0
	.set _ZL29rocblas_trtri_diagonal_kernelILi16EfPKPKfPKPfEv13rocblas_fill_17rocblas_diagonal_iT1_lillT2_lilli.has_dyn_sized_stack, 0
	.set _ZL29rocblas_trtri_diagonal_kernelILi16EfPKPKfPKPfEv13rocblas_fill_17rocblas_diagonal_iT1_lillT2_lilli.has_recursion, 0
	.set _ZL29rocblas_trtri_diagonal_kernelILi16EfPKPKfPKPfEv13rocblas_fill_17rocblas_diagonal_iT1_lillT2_lilli.has_indirect_call, 0
	.section	.AMDGPU.csdata,"",@progbits
; Kernel info:
; codeLenInByte = 2964
; TotalNumSgprs: 46
; NumVgprs: 13
; NumAgprs: 0
; TotalNumVgprs: 13
; ScratchSize: 0
; MemoryBound: 0
; FloatMode: 240
; IeeeMode: 1
; LDSByteSize: 4096 bytes/workgroup (compile time only)
; SGPRBlocks: 5
; VGPRBlocks: 1
; NumSGPRsForWavesPerEU: 46
; NumVGPRsForWavesPerEU: 13
; AccumOffset: 16
; Occupancy: 8
; WaveLimiterHint : 1
; COMPUTE_PGM_RSRC2:SCRATCH_EN: 0
; COMPUTE_PGM_RSRC2:USER_SGPR: 2
; COMPUTE_PGM_RSRC2:TRAP_HANDLER: 0
; COMPUTE_PGM_RSRC2:TGID_X_EN: 1
; COMPUTE_PGM_RSRC2:TGID_Y_EN: 0
; COMPUTE_PGM_RSRC2:TGID_Z_EN: 1
; COMPUTE_PGM_RSRC2:TIDIG_COMP_CNT: 0
; COMPUTE_PGM_RSRC3_GFX90A:ACCUM_OFFSET: 3
; COMPUTE_PGM_RSRC3_GFX90A:TG_SPLIT: 0
	.section	.text._ZL30rocblas_trtri_remainder_kernelILi16EfPKPKfPKPfEv13rocblas_fill_17rocblas_diagonal_iT1_lillT2_lilli,"axG",@progbits,_ZL30rocblas_trtri_remainder_kernelILi16EfPKPKfPKPfEv13rocblas_fill_17rocblas_diagonal_iT1_lillT2_lilli,comdat
	.globl	_ZL30rocblas_trtri_remainder_kernelILi16EfPKPKfPKPfEv13rocblas_fill_17rocblas_diagonal_iT1_lillT2_lilli ; -- Begin function _ZL30rocblas_trtri_remainder_kernelILi16EfPKPKfPKPfEv13rocblas_fill_17rocblas_diagonal_iT1_lillT2_lilli
	.p2align	8
	.type	_ZL30rocblas_trtri_remainder_kernelILi16EfPKPKfPKPfEv13rocblas_fill_17rocblas_diagonal_iT1_lillT2_lilli,@function
_ZL30rocblas_trtri_remainder_kernelILi16EfPKPKfPKPfEv13rocblas_fill_17rocblas_diagonal_iT1_lillT2_lilli: ; @_ZL30rocblas_trtri_remainder_kernelILi16EfPKPKfPKPfEv13rocblas_fill_17rocblas_diagonal_iT1_lillT2_lilli
; %bb.0:
	s_load_dwordx4 s[8:11], s[0:1], 0x0
	s_waitcnt lgkmcnt(0)
	s_cmp_lt_i32 s10, 1
	s_cbranch_scc1 .LBB19_36
; %bb.1:
	s_load_dwordx4 s[16:19], s[0:1], 0x30
	s_load_dwordx2 s[20:21], s[0:1], 0x40
	s_mov_b32 s4, s3
	s_mov_b32 s5, 0
	s_lshl_b64 s[26:27], s[4:5], 3
	s_waitcnt lgkmcnt(0)
	s_add_u32 s4, s18, s26
	s_addc_u32 s5, s19, s27
	s_load_dwordx2 s[18:19], s[4:5], 0x0
	v_cmp_le_u32_e64 s[4:5], s10, v0
	v_cmp_gt_u32_e64 s[6:7], s10, v0
	s_and_saveexec_b64 s[22:23], s[6:7]
	s_cbranch_execz .LBB19_9
; %bb.2:
	s_load_dwordx4 s[12:15], s[0:1], 0x10
	s_load_dword s24, s[0:1], 0x20
	s_mul_i32 s3, s17, s2
	s_mul_hi_u32 s11, s16, s2
	s_mul_i32 s16, s16, s2
	s_waitcnt lgkmcnt(0)
	s_add_u32 s12, s12, s26
	s_addc_u32 s13, s13, s27
	s_load_dwordx2 s[12:13], s[12:13], 0x0
	s_add_i32 s17, s11, s3
	s_cmpk_lg_i32 s8, 0x7a
	s_mov_b64 s[26:27], -1
	s_cbranch_scc0 .LBB19_6
; %bb.3:
	s_add_i32 s11, s10, -1
	s_ashr_i32 s25, s24, 31
	s_mul_i32 s28, s25, s11
	s_mul_hi_u32 s29, s24, s11
	s_add_i32 s29, s29, s28
	s_mul_i32 s28, s24, s11
	s_lshl_b32 s3, s10, 2
	s_lshl_b64 s[26:27], s[16:17], 2
	s_lshl_b64 s[28:29], s[28:29], 2
	v_sub_u32_e32 v1, s11, v0
	s_add_u32 s11, s26, s28
	s_addc_u32 s28, s27, s29
	s_lshl_b64 s[26:27], s[14:15], 2
	s_add_u32 s11, s11, s26
	s_addc_u32 s27, s28, s27
	s_waitcnt lgkmcnt(0)
	s_add_u32 s26, s12, s11
	s_addc_u32 s27, s13, s27
	s_lshl_b64 s[28:29], s[24:25], 2
	v_lshlrev_b32_e32 v2, 2, v0
	v_mov_b32_e32 v3, 0
	s_sub_u32 s28, 0, s28
	v_lshlrev_b32_e32 v1, 2, v1
	v_lshl_add_u64 v[2:3], s[26:27], 0, v[2:3]
	s_mov_b64 s[26:27], 0
	s_subb_u32 s29, 0, s29
	s_mov_b32 s11, s10
.LBB19_4:                               ; =>This Inner Loop Header: Depth=1
	flat_load_dword v4, v[2:3]
	s_add_i32 s11, s11, -1
	v_cmp_le_u32_e32 vcc, s11, v0
	v_lshl_add_u64 v[2:3], v[2:3], 0, s[28:29]
	s_or_b64 s[26:27], vcc, s[26:27]
	s_waitcnt vmcnt(0) lgkmcnt(0)
	ds_write_b32 v1, v4
	v_add_u32_e32 v1, s3, v1
	s_andn2_b64 exec, exec, s[26:27]
	s_cbranch_execnz .LBB19_4
; %bb.5:
	s_or_b64 exec, exec, s[26:27]
	s_mov_b64 s[26:27], 0
.LBB19_6:
	s_and_b64 vcc, exec, s[26:27]
	s_cbranch_vccz .LBB19_9
; %bb.7:
	s_lshl_b64 s[14:15], s[14:15], 2
	s_waitcnt lgkmcnt(0)
	s_add_u32 s3, s12, s14
	s_addc_u32 s11, s13, s15
	s_lshl_b64 s[12:13], s[16:17], 2
	s_add_u32 s12, s3, s12
	s_addc_u32 s13, s11, s13
	s_ashr_i32 s25, s24, 31
	v_lshlrev_b32_e32 v2, 2, v0
	v_mov_b32_e32 v3, 0
	v_lshl_add_u64 v[4:5], s[12:13], 0, v[2:3]
	v_add_u32_e32 v1, 1, v0
	s_lshl_b32 s3, s10, 2
	s_lshl_b64 s[12:13], s[24:25], 2
	s_mov_b64 s[14:15], 0
.LBB19_8:                               ; =>This Inner Loop Header: Depth=1
	flat_load_dword v3, v[4:5]
	v_add_u32_e32 v1, -1, v1
	v_cmp_eq_u32_e32 vcc, 0, v1
	v_lshl_add_u64 v[4:5], v[4:5], 0, s[12:13]
	s_or_b64 s[14:15], vcc, s[14:15]
	s_waitcnt vmcnt(0) lgkmcnt(0)
	ds_write_b32 v2, v3
	v_add_u32_e32 v2, s3, v2
	s_andn2_b64 exec, exec, s[14:15]
	s_cbranch_execnz .LBB19_8
.LBB19_9:
	s_or_b64 exec, exec, s[22:23]
	s_waitcnt lgkmcnt(0)
	s_barrier
                                        ; implicit-def: $vgpr2
	s_and_saveexec_b64 s[12:13], s[4:5]
	s_xor_b64 s[4:5], exec, s[12:13]
; %bb.10:
	v_mad_u64_u32 v[2:3], s[12:13], v0, s10, v[0:1]
; %bb.11:
	s_andn2_saveexec_b64 s[4:5], s[4:5]
	s_cbranch_execz .LBB19_17
; %bb.12:
	v_mad_u64_u32 v[2:3], s[12:13], v0, s10, v[0:1]
	s_cmpk_eq_i32 s9, 0x84
	v_lshlrev_b32_e32 v1, 2, v2
	v_mov_b32_e32 v4, 1.0
	s_cbranch_scc1 .LBB19_16
; %bb.13:
	ds_read_b32 v3, v1
	v_mov_b32_e32 v4, 1.0
	s_waitcnt lgkmcnt(0)
	v_cmp_neq_f32_e32 vcc, 0, v3
	s_and_saveexec_b64 s[12:13], vcc
	s_cbranch_execz .LBB19_15
; %bb.14:
	v_div_scale_f32 v4, s[14:15], v3, v3, 1.0
	v_rcp_f32_e32 v5, v4
	v_div_scale_f32 v6, vcc, 1.0, v3, 1.0
	v_fma_f32 v7, -v4, v5, 1.0
	v_fmac_f32_e32 v5, v7, v5
	v_mul_f32_e32 v7, v6, v5
	v_fma_f32 v8, -v4, v7, v6
	v_fmac_f32_e32 v7, v8, v5
	v_fma_f32 v4, -v4, v7, v6
	v_div_fmas_f32 v4, v4, v5, v7
	v_div_fixup_f32 v4, v4, v3, 1.0
.LBB19_15:
	s_or_b64 exec, exec, s[12:13]
.LBB19_16:
	ds_write_b32 v1, v4
.LBB19_17:
	s_or_b64 exec, exec, s[4:5]
	v_lshlrev_b32_e32 v1, 2, v0
	s_lshl_b32 s9, s10, 2
	v_lshlrev_b32_e32 v2, 2, v2
	s_mov_b32 s3, 4
	s_add_i32 s11, s9, 4
	v_add_u32_e32 v3, s9, v1
	s_mov_b32 s12, 0
	s_waitcnt lgkmcnt(0)
	s_barrier
	s_branch .LBB19_19
.LBB19_18:                              ;   in Loop: Header=BB19_19 Depth=1
	s_add_i32 s3, s3, s11
	s_cmp_eq_u32 s12, s10
	v_add_u32_e32 v3, s9, v3
	s_barrier
	s_cbranch_scc1 .LBB19_28
.LBB19_19:                              ; =>This Loop Header: Depth=1
                                        ;     Child Loop BB19_24 Depth 2
	v_cmp_lt_u32_e32 vcc, s12, v0
	s_mul_i32 s13, s12, s10
	v_mov_b32_e32 v4, 0
	s_and_saveexec_b64 s[4:5], vcc
	s_cbranch_execz .LBB19_21
; %bb.20:                               ;   in Loop: Header=BB19_19 Depth=1
	s_lshl_b32 s14, s12, 2
	s_lshl_b32 s15, s13, 2
	s_add_i32 s14, s14, s15
	v_add_u32_e32 v4, s15, v1
	v_mov_b32_e32 v5, s14
	ds_read_b32 v4, v4
	ds_read_b32 v5, v5
	s_waitcnt lgkmcnt(0)
	v_fma_f32 v4, v4, v5, 0
.LBB19_21:                              ;   in Loop: Header=BB19_19 Depth=1
	s_or_b64 exec, exec, s[4:5]
	s_add_i32 s12, s12, 1
	s_cmp_ge_i32 s12, s10
	s_barrier
	s_cbranch_scc1 .LBB19_18
; %bb.22:                               ;   in Loop: Header=BB19_19 Depth=1
	v_lshl_add_u32 v5, s13, 2, v1
	v_mov_b32_e32 v6, v3
	s_mov_b32 s13, s3
	s_mov_b32 s14, s12
	s_branch .LBB19_24
.LBB19_23:                              ;   in Loop: Header=BB19_24 Depth=2
	s_or_b64 exec, exec, s[4:5]
	s_add_i32 s14, s14, 1
	s_add_i32 s13, s13, 4
	s_cmp_eq_u32 s10, s14
	v_add_u32_e32 v6, s9, v6
	s_barrier
	s_cbranch_scc1 .LBB19_18
.LBB19_24:                              ;   Parent Loop BB19_19 Depth=1
                                        ; =>  This Inner Loop Header: Depth=2
	v_cmp_eq_u32_e32 vcc, s14, v0
	s_and_saveexec_b64 s[4:5], vcc
	s_cbranch_execz .LBB19_26
; %bb.25:                               ;   in Loop: Header=BB19_24 Depth=2
	ds_read_b32 v7, v2
	s_waitcnt lgkmcnt(0)
	v_mul_f32_e64 v7, -v4, v7
	ds_write_b32 v5, v7
.LBB19_26:                              ;   in Loop: Header=BB19_24 Depth=2
	s_or_b64 exec, exec, s[4:5]
	v_cmp_lt_u32_e32 vcc, s14, v0
	s_waitcnt lgkmcnt(0)
	s_barrier
	s_and_saveexec_b64 s[4:5], vcc
	s_cbranch_execz .LBB19_23
; %bb.27:                               ;   in Loop: Header=BB19_24 Depth=2
	v_mov_b32_e32 v8, s13
	ds_read_b32 v7, v6
	ds_read_b32 v8, v8
	s_waitcnt lgkmcnt(0)
	v_fmac_f32_e32 v4, v7, v8
	s_branch .LBB19_23
.LBB19_28:
	s_and_saveexec_b64 s[4:5], s[6:7]
	s_cbranch_execz .LBB19_36
; %bb.29:
	s_load_dwordx2 s[6:7], s[0:1], 0x58
	s_load_dword s4, s[0:1], 0x48
	s_waitcnt lgkmcnt(0)
	s_mul_i32 s0, s7, s2
	s_mul_hi_u32 s1, s6, s2
	s_add_i32 s1, s1, s0
	s_mul_i32 s0, s6, s2
	s_cmpk_lg_i32 s8, 0x7a
	s_mov_b64 s[2:3], -1
	s_cbranch_scc0 .LBB19_33
; %bb.30:
	s_add_i32 s6, s10, -1
	s_ashr_i32 s5, s4, 31
	s_mul_i32 s7, s5, s6
	s_mul_hi_u32 s8, s4, s6
	v_sub_u32_e32 v2, s6, v0
	s_add_i32 s7, s8, s7
	s_mul_i32 s6, s4, s6
	s_lshl_b64 s[2:3], s[0:1], 2
	s_lshl_b64 s[6:7], s[6:7], 2
	s_add_u32 s6, s2, s6
	s_addc_u32 s7, s3, s7
	s_lshl_b64 s[2:3], s[20:21], 2
	s_add_u32 s2, s6, s2
	s_addc_u32 s3, s7, s3
	s_add_u32 s2, s18, s2
	s_addc_u32 s3, s19, s3
	s_lshl_b64 s[6:7], s[4:5], 2
	v_lshlrev_b32_e32 v4, 2, v2
	v_lshlrev_b32_e32 v2, 2, v0
	v_mov_b32_e32 v3, 0
	s_sub_u32 s6, 0, s6
	v_lshl_add_u64 v[2:3], s[2:3], 0, v[2:3]
	s_mov_b64 s[2:3], 0
	s_subb_u32 s7, 0, s7
.LBB19_31:                              ; =>This Inner Loop Header: Depth=1
	ds_read_b32 v5, v4
	s_add_i32 s10, s10, -1
	v_cmp_le_u32_e32 vcc, s10, v0
	v_add_u32_e32 v4, s9, v4
	s_or_b64 s[2:3], vcc, s[2:3]
	s_waitcnt lgkmcnt(0)
	flat_store_dword v[2:3], v5
	v_lshl_add_u64 v[2:3], v[2:3], 0, s[6:7]
	s_andn2_b64 exec, exec, s[2:3]
	s_cbranch_execnz .LBB19_31
; %bb.32:
	s_or_b64 exec, exec, s[2:3]
	s_mov_b64 s[2:3], 0
.LBB19_33:
	s_and_b64 vcc, exec, s[2:3]
	s_cbranch_vccz .LBB19_36
; %bb.34:
	s_lshl_b64 s[2:3], s[20:21], 2
	s_add_u32 s2, s18, s2
	s_addc_u32 s3, s19, s3
	s_lshl_b64 s[0:1], s[0:1], 2
	s_add_u32 s0, s2, s0
	s_addc_u32 s1, s3, s1
	s_ashr_i32 s5, s4, 31
	v_lshlrev_b32_e32 v2, 2, v0
	v_mov_b32_e32 v3, 0
	v_lshl_add_u64 v[2:3], s[0:1], 0, v[2:3]
	v_add_u32_e32 v0, 1, v0
	s_lshl_b64 s[0:1], s[4:5], 2
	s_mov_b64 s[2:3], 0
.LBB19_35:                              ; =>This Inner Loop Header: Depth=1
	ds_read_b32 v4, v1
	v_add_u32_e32 v0, -1, v0
	v_cmp_eq_u32_e32 vcc, 0, v0
	v_add_u32_e32 v1, s9, v1
	s_or_b64 s[2:3], vcc, s[2:3]
	s_waitcnt lgkmcnt(0)
	flat_store_dword v[2:3], v4
	v_lshl_add_u64 v[2:3], v[2:3], 0, s[0:1]
	s_andn2_b64 exec, exec, s[2:3]
	s_cbranch_execnz .LBB19_35
.LBB19_36:
	s_endpgm
	.section	.rodata,"a",@progbits
	.p2align	6, 0x0
	.amdhsa_kernel _ZL30rocblas_trtri_remainder_kernelILi16EfPKPKfPKPfEv13rocblas_fill_17rocblas_diagonal_iT1_lillT2_lilli
		.amdhsa_group_segment_fixed_size 4096
		.amdhsa_private_segment_fixed_size 0
		.amdhsa_kernarg_size 100
		.amdhsa_user_sgpr_count 2
		.amdhsa_user_sgpr_dispatch_ptr 0
		.amdhsa_user_sgpr_queue_ptr 0
		.amdhsa_user_sgpr_kernarg_segment_ptr 1
		.amdhsa_user_sgpr_dispatch_id 0
		.amdhsa_user_sgpr_kernarg_preload_length 0
		.amdhsa_user_sgpr_kernarg_preload_offset 0
		.amdhsa_user_sgpr_private_segment_size 0
		.amdhsa_uses_dynamic_stack 0
		.amdhsa_enable_private_segment 0
		.amdhsa_system_sgpr_workgroup_id_x 1
		.amdhsa_system_sgpr_workgroup_id_y 0
		.amdhsa_system_sgpr_workgroup_id_z 1
		.amdhsa_system_sgpr_workgroup_info 0
		.amdhsa_system_vgpr_workitem_id 0
		.amdhsa_next_free_vgpr 9
		.amdhsa_next_free_sgpr 30
		.amdhsa_accum_offset 12
		.amdhsa_reserve_vcc 1
		.amdhsa_float_round_mode_32 0
		.amdhsa_float_round_mode_16_64 0
		.amdhsa_float_denorm_mode_32 3
		.amdhsa_float_denorm_mode_16_64 3
		.amdhsa_dx10_clamp 1
		.amdhsa_ieee_mode 1
		.amdhsa_fp16_overflow 0
		.amdhsa_tg_split 0
		.amdhsa_exception_fp_ieee_invalid_op 0
		.amdhsa_exception_fp_denorm_src 0
		.amdhsa_exception_fp_ieee_div_zero 0
		.amdhsa_exception_fp_ieee_overflow 0
		.amdhsa_exception_fp_ieee_underflow 0
		.amdhsa_exception_fp_ieee_inexact 0
		.amdhsa_exception_int_div_zero 0
	.end_amdhsa_kernel
	.section	.text._ZL30rocblas_trtri_remainder_kernelILi16EfPKPKfPKPfEv13rocblas_fill_17rocblas_diagonal_iT1_lillT2_lilli,"axG",@progbits,_ZL30rocblas_trtri_remainder_kernelILi16EfPKPKfPKPfEv13rocblas_fill_17rocblas_diagonal_iT1_lillT2_lilli,comdat
.Lfunc_end19:
	.size	_ZL30rocblas_trtri_remainder_kernelILi16EfPKPKfPKPfEv13rocblas_fill_17rocblas_diagonal_iT1_lillT2_lilli, .Lfunc_end19-_ZL30rocblas_trtri_remainder_kernelILi16EfPKPKfPKPfEv13rocblas_fill_17rocblas_diagonal_iT1_lillT2_lilli
                                        ; -- End function
	.set _ZL30rocblas_trtri_remainder_kernelILi16EfPKPKfPKPfEv13rocblas_fill_17rocblas_diagonal_iT1_lillT2_lilli.num_vgpr, 9
	.set _ZL30rocblas_trtri_remainder_kernelILi16EfPKPKfPKPfEv13rocblas_fill_17rocblas_diagonal_iT1_lillT2_lilli.num_agpr, 0
	.set _ZL30rocblas_trtri_remainder_kernelILi16EfPKPKfPKPfEv13rocblas_fill_17rocblas_diagonal_iT1_lillT2_lilli.numbered_sgpr, 30
	.set _ZL30rocblas_trtri_remainder_kernelILi16EfPKPKfPKPfEv13rocblas_fill_17rocblas_diagonal_iT1_lillT2_lilli.num_named_barrier, 0
	.set _ZL30rocblas_trtri_remainder_kernelILi16EfPKPKfPKPfEv13rocblas_fill_17rocblas_diagonal_iT1_lillT2_lilli.private_seg_size, 0
	.set _ZL30rocblas_trtri_remainder_kernelILi16EfPKPKfPKPfEv13rocblas_fill_17rocblas_diagonal_iT1_lillT2_lilli.uses_vcc, 1
	.set _ZL30rocblas_trtri_remainder_kernelILi16EfPKPKfPKPfEv13rocblas_fill_17rocblas_diagonal_iT1_lillT2_lilli.uses_flat_scratch, 0
	.set _ZL30rocblas_trtri_remainder_kernelILi16EfPKPKfPKPfEv13rocblas_fill_17rocblas_diagonal_iT1_lillT2_lilli.has_dyn_sized_stack, 0
	.set _ZL30rocblas_trtri_remainder_kernelILi16EfPKPKfPKPfEv13rocblas_fill_17rocblas_diagonal_iT1_lillT2_lilli.has_recursion, 0
	.set _ZL30rocblas_trtri_remainder_kernelILi16EfPKPKfPKPfEv13rocblas_fill_17rocblas_diagonal_iT1_lillT2_lilli.has_indirect_call, 0
	.section	.AMDGPU.csdata,"",@progbits
; Kernel info:
; codeLenInByte = 1260
; TotalNumSgprs: 36
; NumVgprs: 9
; NumAgprs: 0
; TotalNumVgprs: 9
; ScratchSize: 0
; MemoryBound: 0
; FloatMode: 240
; IeeeMode: 1
; LDSByteSize: 4096 bytes/workgroup (compile time only)
; SGPRBlocks: 4
; VGPRBlocks: 1
; NumSGPRsForWavesPerEU: 36
; NumVGPRsForWavesPerEU: 9
; AccumOffset: 12
; Occupancy: 8
; WaveLimiterHint : 0
; COMPUTE_PGM_RSRC2:SCRATCH_EN: 0
; COMPUTE_PGM_RSRC2:USER_SGPR: 2
; COMPUTE_PGM_RSRC2:TRAP_HANDLER: 0
; COMPUTE_PGM_RSRC2:TGID_X_EN: 1
; COMPUTE_PGM_RSRC2:TGID_Y_EN: 0
; COMPUTE_PGM_RSRC2:TGID_Z_EN: 1
; COMPUTE_PGM_RSRC2:TIDIG_COMP_CNT: 0
; COMPUTE_PGM_RSRC3_GFX90A:ACCUM_OFFSET: 2
; COMPUTE_PGM_RSRC3_GFX90A:TG_SPLIT: 0
	.section	.text._ZL18rocblas_trtri_fillILi128EdPKPdEvP15_rocblas_handle13rocblas_fill_ililT1_llii,"axG",@progbits,_ZL18rocblas_trtri_fillILi128EdPKPdEvP15_rocblas_handle13rocblas_fill_ililT1_llii,comdat
	.globl	_ZL18rocblas_trtri_fillILi128EdPKPdEvP15_rocblas_handle13rocblas_fill_ililT1_llii ; -- Begin function _ZL18rocblas_trtri_fillILi128EdPKPdEvP15_rocblas_handle13rocblas_fill_ililT1_llii
	.p2align	8
	.type	_ZL18rocblas_trtri_fillILi128EdPKPdEvP15_rocblas_handle13rocblas_fill_ililT1_llii,@function
_ZL18rocblas_trtri_fillILi128EdPKPdEvP15_rocblas_handle13rocblas_fill_ililT1_llii: ; @_ZL18rocblas_trtri_fillILi128EdPKPdEvP15_rocblas_handle13rocblas_fill_ililT1_llii
; %bb.0:
	s_mov_b32 s12, s3
	s_load_dword s3, s[0:1], 0x40
	s_load_dwordx2 s[8:9], s[0:1], 0x10
	s_waitcnt lgkmcnt(0)
	s_ashr_i32 s4, s3, 31
	s_mul_hi_u32 s5, s8, s3
	s_mul_i32 s4, s8, s4
	s_add_i32 s4, s5, s4
	s_mul_i32 s5, s9, s3
	s_mul_i32 s10, s8, s3
	s_mov_b32 s3, 0
	s_add_i32 s11, s4, s5
	s_lshl_b64 s[4:5], s[2:3], 7
	v_or_b32_e32 v0, s4, v0
	v_mov_b32_e32 v1, s5
	v_cmp_gt_u64_e32 vcc, s[10:11], v[0:1]
	s_and_saveexec_b64 s[4:5], vcc
	s_cbranch_execz .LBB20_14
; %bb.1:
	s_load_dword s2, s[0:1], 0x18
	s_load_dwordx4 s[4:7], s[0:1], 0x20
	s_load_dwordx2 s[14:15], s[0:1], 0x30
	s_mov_b32 s13, s3
	s_lshl_b64 s[12:13], s[12:13], 3
	s_waitcnt lgkmcnt(0)
	s_ashr_i32 s3, s2, 31
	s_add_u32 s12, s6, s12
	v_cvt_f32_u32_e32 v4, s8
	v_cvt_f32_u32_e32 v5, s9
	s_addc_u32 s13, s7, s13
	s_load_dwordx2 s[16:17], s[12:13], 0x0
	s_load_dwordx2 s[6:7], s[0:1], 0x8
	s_lshl_b64 s[12:13], s[14:15], 3
	v_fmamk_f32 v4, v5, 0x4f800000, v4
	v_rcp_f32_e32 v5, v4
	v_cvt_f32_u32_e32 v6, s8
	s_waitcnt lgkmcnt(0)
	s_add_u32 s12, s16, s12
	s_addc_u32 s13, s17, s13
	s_add_i32 s14, s7, -2
	v_cvt_f64_i32_e32 v[2:3], s14
	s_add_i32 s14, s7, -1
	s_mul_hi_i32 s15, s14, s7
	s_mul_i32 s14, s14, s7
	v_mul_f32_e32 v5, 0x5f7ffffc, v5
	v_rcp_iflag_f32_e32 v6, v6
	s_ashr_i32 s24, s7, 31
	s_lshl_b64 s[16:17], s[14:15], 2
	v_mul_f32_e32 v7, 0x2f800000, v5
	s_mov_b32 s25, s7
	s_add_u32 s7, s16, -7
	s_load_dword s16, s[0:1], 0x48
	s_load_dword s18, s[0:1], 0x54
	v_trunc_f32_e32 v7, v7
	v_fmamk_f32 v5, v7, 0xcf800000, v5
	v_cvt_u32_f32_e32 v12, v5
	v_mul_f32_e32 v5, 0x4f7ffffe, v6
	v_cvt_u32_f32_e32 v13, v7
	v_cvt_u32_f32_e32 v14, v5
	s_addc_u32 s26, s17, -1
	s_waitcnt lgkmcnt(0)
	s_and_b32 s0, s18, 0xffff
	v_mov_b32_e32 v4, 0
	s_mov_b32 s20, 0
	s_lshr_b64 s[14:15], s[14:15], 1
	s_mul_hi_u32 s17, s0, s16
	s_mul_i32 s16, s0, s16
	s_mov_b64 s[18:19], 0
	s_brev_b32 s21, 8
	v_mov_b32_e32 v15, 0x260
	s_movk_i32 s27, 0xffe0
	v_mov_b32_e32 v16, 0x100
	v_mov_b32_e32 v17, 0xffffff80
	;; [unrolled: 1-line block ×4, first 2 shown]
	s_branch .LBB20_3
.LBB20_2:                               ;   in Loop: Header=BB20_3 Depth=1
	v_lshl_add_u64 v[0:1], v[0:1], 0, s[16:17]
	v_cmp_le_u64_e32 vcc, s[10:11], v[0:1]
	s_or_b64 s[18:19], vcc, s[18:19]
	s_andn2_b64 exec, exec, s[18:19]
	s_cbranch_execz .LBB20_14
.LBB20_3:                               ; =>This Inner Loop Header: Depth=1
	v_or_b32_e32 v5, s9, v1
	v_cmp_ne_u64_e32 vcc, 0, v[4:5]
                                        ; implicit-def: $vgpr8_vgpr9
	s_and_saveexec_b64 s[0:1], vcc
	s_xor_b64 s[22:23], exec, s[0:1]
	s_cbranch_execz .LBB20_5
; %bb.4:                                ;   in Loop: Header=BB20_3 Depth=1
	s_sub_u32 s28, 0, s8
	v_readfirstlane_b32 s0, v12
	v_readfirstlane_b32 s31, v13
	s_subb_u32 s29, 0, s9
	s_mul_hi_u32 s30, s28, s0
	s_mul_i32 s33, s28, s31
	s_mul_i32 s1, s29, s0
	s_add_i32 s30, s30, s33
	s_add_i32 s30, s30, s1
	s_mul_i32 s34, s28, s0
	s_mul_i32 s33, s0, s30
	s_mul_hi_u32 s35, s0, s34
	s_mul_hi_u32 s1, s0, s30
	s_add_u32 s33, s35, s33
	s_addc_u32 s1, 0, s1
	s_mul_hi_u32 s36, s31, s34
	s_mul_i32 s34, s31, s34
	s_add_u32 s33, s33, s34
	s_mul_hi_u32 s35, s31, s30
	s_addc_u32 s1, s1, s36
	s_addc_u32 s33, s35, 0
	s_mul_i32 s30, s31, s30
	s_add_u32 s1, s1, s30
	s_addc_u32 s30, 0, s33
	s_add_u32 s33, s0, s1
	s_cselect_b64 s[0:1], -1, 0
	s_cmp_lg_u64 s[0:1], 0
	s_addc_u32 s30, s31, s30
	s_mul_i32 s0, s28, s30
	s_mul_hi_u32 s1, s28, s33
	s_add_i32 s0, s1, s0
	s_mul_i32 s29, s29, s33
	s_add_i32 s0, s0, s29
	s_mul_i32 s28, s28, s33
	s_mul_hi_u32 s29, s30, s28
	s_mul_i32 s31, s30, s28
	s_mul_i32 s35, s33, s0
	s_mul_hi_u32 s28, s33, s28
	s_mul_hi_u32 s34, s33, s0
	s_add_u32 s28, s28, s35
	s_addc_u32 s34, 0, s34
	s_add_u32 s28, s28, s31
	s_mul_hi_u32 s1, s30, s0
	s_addc_u32 s28, s34, s29
	s_addc_u32 s1, s1, 0
	s_mul_i32 s0, s30, s0
	s_add_u32 s0, s28, s0
	s_addc_u32 s28, 0, s1
	s_add_u32 s29, s33, s0
	s_cselect_b64 s[0:1], -1, 0
	s_cmp_lg_u64 s[0:1], 0
	s_addc_u32 s28, s30, s28
	v_mad_u64_u32 v[8:9], s[0:1], v0, s28, 0
	v_mul_hi_u32 v10, v0, s29
	v_mov_b32_e32 v11, v4
	v_lshl_add_u64 v[8:9], v[10:11], 0, v[8:9]
	v_mad_u64_u32 v[18:19], s[0:1], v1, s29, 0
	v_add_co_u32_e32 v5, vcc, v8, v18
	v_mad_u64_u32 v[10:11], s[0:1], v1, s28, 0
	s_nop 0
	v_addc_co_u32_e32 v8, vcc, v9, v19, vcc
	v_mov_b32_e32 v9, v4
	s_nop 0
	v_addc_co_u32_e32 v11, vcc, 0, v11, vcc
	v_lshl_add_u64 v[8:9], v[8:9], 0, v[10:11]
	v_mul_lo_u32 v5, s9, v8
	v_mul_lo_u32 v18, s8, v9
	v_mad_u64_u32 v[10:11], s[0:1], s8, v8, 0
	v_add3_u32 v5, v11, v18, v5
	v_sub_u32_e32 v11, v1, v5
	v_mov_b32_e32 v18, s9
	v_sub_co_u32_e32 v20, vcc, v0, v10
	s_nop 1
	v_subb_co_u32_e64 v10, s[0:1], v11, v18, vcc
	v_subrev_co_u32_e64 v11, s[0:1], s8, v20
	v_subb_co_u32_e32 v5, vcc, v1, v5, vcc
	s_nop 0
	v_subbrev_co_u32_e64 v10, s[0:1], 0, v10, s[0:1]
	v_cmp_le_u32_e64 s[0:1], s9, v10
	v_cmp_le_u32_e32 vcc, s9, v5
	s_nop 0
	v_cndmask_b32_e64 v18, 0, -1, s[0:1]
	v_cmp_le_u32_e64 s[0:1], s8, v11
	s_nop 1
	v_cndmask_b32_e64 v11, 0, -1, s[0:1]
	v_cmp_eq_u32_e64 s[0:1], s9, v10
	s_nop 1
	v_cndmask_b32_e64 v21, v18, v11, s[0:1]
	v_lshl_add_u64 v[10:11], v[8:9], 0, 2
	v_lshl_add_u64 v[18:19], v[8:9], 0, 1
	v_cmp_ne_u32_e64 s[0:1], 0, v21
	s_nop 1
	v_cndmask_b32_e64 v11, v19, v11, s[0:1]
	v_cndmask_b32_e64 v19, 0, -1, vcc
	v_cmp_le_u32_e32 vcc, s8, v20
	s_nop 1
	v_cndmask_b32_e64 v20, 0, -1, vcc
	v_cmp_eq_u32_e32 vcc, s9, v5
	s_nop 1
	v_cndmask_b32_e32 v5, v19, v20, vcc
	v_cmp_ne_u32_e32 vcc, 0, v5
	v_cndmask_b32_e64 v5, v18, v10, s[0:1]
	s_nop 0
	v_cndmask_b32_e32 v9, v9, v11, vcc
	v_cndmask_b32_e32 v8, v8, v5, vcc
.LBB20_5:                               ;   in Loop: Header=BB20_3 Depth=1
	s_andn2_saveexec_b64 s[0:1], s[22:23]
	s_cbranch_execz .LBB20_7
; %bb.6:                                ;   in Loop: Header=BB20_3 Depth=1
	s_sub_i32 s22, 0, s8
	v_mul_lo_u32 v5, s22, v14
	v_mul_hi_u32 v5, v14, v5
	v_add_u32_e32 v5, v14, v5
	v_mul_hi_u32 v5, v0, v5
	v_mul_lo_u32 v8, v5, s8
	v_sub_u32_e32 v8, v0, v8
	v_subrev_u32_e32 v9, s8, v8
	v_cmp_le_u32_e32 vcc, s8, v8
	s_nop 1
	v_cndmask_b32_e32 v8, v8, v9, vcc
	v_add_u32_e32 v9, 1, v5
	v_cndmask_b32_e32 v5, v5, v9, vcc
	v_add_u32_e32 v9, 1, v5
	v_cmp_le_u32_e32 vcc, s8, v8
	s_nop 1
	v_cndmask_b32_e32 v8, v5, v9, vcc
	v_mov_b32_e32 v9, v4
.LBB20_7:                               ;   in Loop: Header=BB20_3 Depth=1
	s_or_b64 exec, exec, s[0:1]
	v_mul_lo_u32 v5, v9, s8
	v_mul_lo_u32 v18, v8, s9
	v_mad_u64_u32 v[10:11], s[0:1], v8, s8, 0
	v_add3_u32 v5, v11, v18, v5
	v_sub_co_u32_e32 v10, vcc, v0, v10
	s_cmpk_lt_i32 s6, 0x7a
	s_nop 0
	v_subb_co_u32_e32 v11, vcc, v1, v5, vcc
	s_mov_b64 s[0:1], -1
	s_cbranch_scc1 .LBB20_11
; %bb.8:                                ;   in Loop: Header=BB20_3 Depth=1
	s_cmpk_eq_i32 s6, 0x7a
	s_cbranch_scc0 .LBB20_10
; %bb.9:                                ;   in Loop: Header=BB20_3 Depth=1
	v_lshlrev_b64 v[18:19], 3, v[10:11]
	v_mov_b32_e32 v5, s26
	v_sub_co_u32_e32 v20, vcc, s7, v18
	v_cvt_f64_u32_e32 v[20:21], v20
	s_nop 0
	v_subb_co_u32_e32 v5, vcc, v5, v19, vcc
	v_cvt_f64_u32_e32 v[18:19], v5
	v_ldexp_f64 v[18:19], v[18:19], 32
	v_add_f64 v[18:19], v[18:19], v[20:21]
	v_cmp_gt_f64_e32 vcc, s[20:21], v[18:19]
	s_nop 1
	v_cndmask_b32_e32 v5, 0, v16, vcc
	v_ldexp_f64 v[18:19], v[18:19], v5
	v_rsq_f64_e32 v[20:21], v[18:19]
	v_cndmask_b32_e32 v5, 0, v17, vcc
	v_cmp_class_f64_e32 vcc, v[18:19], v15
	v_mul_f64 v[22:23], v[18:19], v[20:21]
	v_mul_f64 v[20:21], v[20:21], 0.5
	v_fma_f64 v[24:25], -v[20:21], v[22:23], 0.5
	v_fmac_f64_e32 v[22:23], v[22:23], v[24:25]
	v_fma_f64 v[26:27], -v[22:23], v[22:23], v[18:19]
	v_fmac_f64_e32 v[20:21], v[20:21], v[24:25]
	v_fmac_f64_e32 v[22:23], v[26:27], v[20:21]
	v_fma_f64 v[24:25], -v[22:23], v[22:23], v[18:19]
	v_fmac_f64_e32 v[22:23], v[24:25], v[20:21]
	v_ldexp_f64 v[20:21], v[22:23], v5
	v_cndmask_b32_e32 v19, v21, v19, vcc
	v_cndmask_b32_e32 v18, v20, v18, vcc
	v_fma_f64 v[18:19], v[18:19], 0.5, -0.5
	v_floor_f64_e32 v[18:19], v[18:19]
	v_add_f64 v[18:19], v[2:3], -v[18:19]
	v_trunc_f64_e32 v[18:19], v[18:19]
	v_ldexp_f64 v[20:21], v[18:19], s27
	v_floor_f64_e32 v[20:21], v[20:21]
	v_fmac_f64_e32 v[18:19], 0xc1f00000, v[20:21]
	v_cvt_u32_f64_e32 v18, v[18:19]
	v_cvt_u32_f64_e32 v19, v[20:21]
	v_mov_b32_e32 v5, s15
	v_subrev_co_u32_e32 v20, vcc, s14, v10
	v_mul_lo_u32 v26, v8, s5
	s_nop 0
	v_subb_co_u32_e32 v21, vcc, v11, v5, vcc
	v_mov_b32_e32 v5, s24
	v_sub_co_u32_e32 v22, vcc, s25, v18
	v_mul_lo_u32 v28, v19, s2
	s_nop 0
	v_subb_co_u32_e32 v23, vcc, v5, v19, vcc
	v_lshl_add_u64 v[24:25], v[22:23], 0, -1
	v_mul_lo_u32 v5, v25, v22
	v_mul_lo_u32 v25, v24, v23
	v_mad_u64_u32 v[22:23], s[0:1], v24, v22, 0
	v_add3_u32 v23, v23, v25, v5
	v_mul_lo_u32 v5, v9, s4
	v_mad_u64_u32 v[24:25], s[0:1], v8, s4, 0
	v_add3_u32 v25, v25, v26, v5
	;; [unrolled: 3-line block ×3, first 2 shown]
	v_lshl_add_u64 v[24:25], v[24:25], 3, s[12:13]
	v_lshl_add_u64 v[24:25], v[26:27], 3, v[24:25]
	;; [unrolled: 1-line block ×4, first 2 shown]
	v_lshlrev_b64 v[20:21], 2, v[22:23]
	v_and_b32_e32 v20, -8, v20
	v_lshl_add_u64 v[18:19], v[18:19], 0, v[20:21]
	flat_store_dwordx2 v[18:19], v[6:7] offset:8
.LBB20_10:                              ;   in Loop: Header=BB20_3 Depth=1
	s_mov_b64 s[0:1], 0
.LBB20_11:                              ;   in Loop: Header=BB20_3 Depth=1
	s_andn2_b64 vcc, exec, s[0:1]
	s_cbranch_vccnz .LBB20_2
; %bb.12:                               ;   in Loop: Header=BB20_3 Depth=1
	s_cmpk_lg_i32 s6, 0x79
	s_cbranch_scc1 .LBB20_2
; %bb.13:                               ;   in Loop: Header=BB20_3 Depth=1
	v_lshlrev_b64 v[18:19], 3, v[10:11]
	v_or_b32_e32 v5, 1, v18
	v_cvt_f64_u32_e32 v[18:19], v19
	v_ldexp_f64 v[18:19], v[18:19], 32
	v_cvt_f64_u32_e32 v[20:21], v5
	v_add_f64 v[18:19], v[18:19], v[20:21]
	v_cmp_gt_f64_e32 vcc, s[20:21], v[18:19]
	s_nop 1
	v_cndmask_b32_e32 v5, 0, v16, vcc
	v_ldexp_f64 v[18:19], v[18:19], v5
	v_rsq_f64_e32 v[20:21], v[18:19]
	v_cndmask_b32_e32 v5, 0, v17, vcc
	v_cmp_class_f64_e32 vcc, v[18:19], v15
	v_mul_f64 v[22:23], v[18:19], v[20:21]
	v_mul_f64 v[20:21], v[20:21], 0.5
	v_fma_f64 v[24:25], -v[20:21], v[22:23], 0.5
	v_fmac_f64_e32 v[22:23], v[22:23], v[24:25]
	v_fma_f64 v[26:27], -v[22:23], v[22:23], v[18:19]
	v_fmac_f64_e32 v[20:21], v[20:21], v[24:25]
	v_fmac_f64_e32 v[22:23], v[26:27], v[20:21]
	v_fma_f64 v[24:25], -v[22:23], v[22:23], v[18:19]
	v_fmac_f64_e32 v[22:23], v[24:25], v[20:21]
	v_ldexp_f64 v[20:21], v[22:23], v5
	v_cndmask_b32_e32 v19, v21, v19, vcc
	v_cndmask_b32_e32 v18, v20, v18, vcc
	v_add_f64 v[18:19], v[18:19], -1.0
	v_mul_f64 v[18:19], v[18:19], 0.5
	v_trunc_f64_e32 v[18:19], v[18:19]
	v_ldexp_f64 v[20:21], v[18:19], s27
	v_floor_f64_e32 v[20:21], v[20:21]
	v_fmac_f64_e32 v[18:19], 0xc1f00000, v[20:21]
	v_cvt_u32_f64_e32 v18, v[18:19]
	v_cvt_u32_f64_e32 v19, v[20:21]
	v_mad_u64_u32 v[20:21], s[0:1], v18, v18, v[18:19]
	v_mul_lo_u32 v5, v18, v19
	v_add3_u32 v21, v5, v21, v5
	v_lshrrev_b64 v[20:21], 1, v[20:21]
	v_sub_co_u32_e32 v10, vcc, v10, v20
	v_mul_lo_u32 v5, v9, s4
	v_mul_lo_u32 v20, v8, s5
	v_mad_u64_u32 v[8:9], s[0:1], v8, s4, 0
	v_subb_co_u32_e32 v11, vcc, v11, v21, vcc
	v_add3_u32 v9, v9, v20, v5
	v_mov_b64_e32 v[20:21], s[2:3]
	v_mul_lo_u32 v5, s3, v18
	v_mad_u64_u32 v[20:21], s[0:1], s2, v18, v[20:21]
	v_mul_lo_u32 v18, s2, v19
	v_add3_u32 v21, v5, v21, v18
	v_lshl_add_u64 v[8:9], v[8:9], 3, s[12:13]
	v_lshl_add_u64 v[8:9], v[20:21], 3, v[8:9]
	;; [unrolled: 1-line block ×3, first 2 shown]
	flat_store_dwordx2 v[8:9], v[6:7]
	s_branch .LBB20_2
.LBB20_14:
	s_endpgm
	.section	.rodata,"a",@progbits
	.p2align	6, 0x0
	.amdhsa_kernel _ZL18rocblas_trtri_fillILi128EdPKPdEvP15_rocblas_handle13rocblas_fill_ililT1_llii
		.amdhsa_group_segment_fixed_size 0
		.amdhsa_private_segment_fixed_size 0
		.amdhsa_kernarg_size 328
		.amdhsa_user_sgpr_count 2
		.amdhsa_user_sgpr_dispatch_ptr 0
		.amdhsa_user_sgpr_queue_ptr 0
		.amdhsa_user_sgpr_kernarg_segment_ptr 1
		.amdhsa_user_sgpr_dispatch_id 0
		.amdhsa_user_sgpr_kernarg_preload_length 0
		.amdhsa_user_sgpr_kernarg_preload_offset 0
		.amdhsa_user_sgpr_private_segment_size 0
		.amdhsa_uses_dynamic_stack 0
		.amdhsa_enable_private_segment 0
		.amdhsa_system_sgpr_workgroup_id_x 1
		.amdhsa_system_sgpr_workgroup_id_y 0
		.amdhsa_system_sgpr_workgroup_id_z 1
		.amdhsa_system_sgpr_workgroup_info 0
		.amdhsa_system_vgpr_workitem_id 0
		.amdhsa_next_free_vgpr 29
		.amdhsa_next_free_sgpr 37
		.amdhsa_accum_offset 32
		.amdhsa_reserve_vcc 1
		.amdhsa_float_round_mode_32 0
		.amdhsa_float_round_mode_16_64 0
		.amdhsa_float_denorm_mode_32 3
		.amdhsa_float_denorm_mode_16_64 3
		.amdhsa_dx10_clamp 1
		.amdhsa_ieee_mode 1
		.amdhsa_fp16_overflow 0
		.amdhsa_tg_split 0
		.amdhsa_exception_fp_ieee_invalid_op 0
		.amdhsa_exception_fp_denorm_src 0
		.amdhsa_exception_fp_ieee_div_zero 0
		.amdhsa_exception_fp_ieee_overflow 0
		.amdhsa_exception_fp_ieee_underflow 0
		.amdhsa_exception_fp_ieee_inexact 0
		.amdhsa_exception_int_div_zero 0
	.end_amdhsa_kernel
	.section	.text._ZL18rocblas_trtri_fillILi128EdPKPdEvP15_rocblas_handle13rocblas_fill_ililT1_llii,"axG",@progbits,_ZL18rocblas_trtri_fillILi128EdPKPdEvP15_rocblas_handle13rocblas_fill_ililT1_llii,comdat
.Lfunc_end20:
	.size	_ZL18rocblas_trtri_fillILi128EdPKPdEvP15_rocblas_handle13rocblas_fill_ililT1_llii, .Lfunc_end20-_ZL18rocblas_trtri_fillILi128EdPKPdEvP15_rocblas_handle13rocblas_fill_ililT1_llii
                                        ; -- End function
	.set _ZL18rocblas_trtri_fillILi128EdPKPdEvP15_rocblas_handle13rocblas_fill_ililT1_llii.num_vgpr, 29
	.set _ZL18rocblas_trtri_fillILi128EdPKPdEvP15_rocblas_handle13rocblas_fill_ililT1_llii.num_agpr, 0
	.set _ZL18rocblas_trtri_fillILi128EdPKPdEvP15_rocblas_handle13rocblas_fill_ililT1_llii.numbered_sgpr, 37
	.set _ZL18rocblas_trtri_fillILi128EdPKPdEvP15_rocblas_handle13rocblas_fill_ililT1_llii.num_named_barrier, 0
	.set _ZL18rocblas_trtri_fillILi128EdPKPdEvP15_rocblas_handle13rocblas_fill_ililT1_llii.private_seg_size, 0
	.set _ZL18rocblas_trtri_fillILi128EdPKPdEvP15_rocblas_handle13rocblas_fill_ililT1_llii.uses_vcc, 1
	.set _ZL18rocblas_trtri_fillILi128EdPKPdEvP15_rocblas_handle13rocblas_fill_ililT1_llii.uses_flat_scratch, 0
	.set _ZL18rocblas_trtri_fillILi128EdPKPdEvP15_rocblas_handle13rocblas_fill_ililT1_llii.has_dyn_sized_stack, 0
	.set _ZL18rocblas_trtri_fillILi128EdPKPdEvP15_rocblas_handle13rocblas_fill_ililT1_llii.has_recursion, 0
	.set _ZL18rocblas_trtri_fillILi128EdPKPdEvP15_rocblas_handle13rocblas_fill_ililT1_llii.has_indirect_call, 0
	.section	.AMDGPU.csdata,"",@progbits
; Kernel info:
; codeLenInByte = 1860
; TotalNumSgprs: 43
; NumVgprs: 29
; NumAgprs: 0
; TotalNumVgprs: 29
; ScratchSize: 0
; MemoryBound: 0
; FloatMode: 240
; IeeeMode: 1
; LDSByteSize: 0 bytes/workgroup (compile time only)
; SGPRBlocks: 5
; VGPRBlocks: 3
; NumSGPRsForWavesPerEU: 43
; NumVGPRsForWavesPerEU: 29
; AccumOffset: 32
; Occupancy: 8
; WaveLimiterHint : 1
; COMPUTE_PGM_RSRC2:SCRATCH_EN: 0
; COMPUTE_PGM_RSRC2:USER_SGPR: 2
; COMPUTE_PGM_RSRC2:TRAP_HANDLER: 0
; COMPUTE_PGM_RSRC2:TGID_X_EN: 1
; COMPUTE_PGM_RSRC2:TGID_Y_EN: 0
; COMPUTE_PGM_RSRC2:TGID_Z_EN: 1
; COMPUTE_PGM_RSRC2:TIDIG_COMP_CNT: 0
; COMPUTE_PGM_RSRC3_GFX90A:ACCUM_OFFSET: 7
; COMPUTE_PGM_RSRC3_GFX90A:TG_SPLIT: 0
	.section	.text._ZL26rocblas_trtri_small_kernelILi16EdPKPKdPKPdEv13rocblas_fill_17rocblas_diagonal_iT1_lillT2_lilli,"axG",@progbits,_ZL26rocblas_trtri_small_kernelILi16EdPKPKdPKPdEv13rocblas_fill_17rocblas_diagonal_iT1_lillT2_lilli,comdat
	.globl	_ZL26rocblas_trtri_small_kernelILi16EdPKPKdPKPdEv13rocblas_fill_17rocblas_diagonal_iT1_lillT2_lilli ; -- Begin function _ZL26rocblas_trtri_small_kernelILi16EdPKPKdPKPdEv13rocblas_fill_17rocblas_diagonal_iT1_lillT2_lilli
	.p2align	8
	.type	_ZL26rocblas_trtri_small_kernelILi16EdPKPKdPKPdEv13rocblas_fill_17rocblas_diagonal_iT1_lillT2_lilli,@function
_ZL26rocblas_trtri_small_kernelILi16EdPKPKdPKPdEv13rocblas_fill_17rocblas_diagonal_iT1_lillT2_lilli: ; @_ZL26rocblas_trtri_small_kernelILi16EdPKPKdPKPdEv13rocblas_fill_17rocblas_diagonal_iT1_lillT2_lilli
; %bb.0:
	s_load_dwordx4 s[8:11], s[0:1], 0x0
	s_waitcnt lgkmcnt(0)
	s_cmp_lt_i32 s10, 1
	s_cbranch_scc1 .LBB21_36
; %bb.1:
	s_load_dwordx4 s[16:19], s[0:1], 0x30
	s_load_dwordx2 s[20:21], s[0:1], 0x40
	s_mov_b32 s4, s3
	s_mov_b32 s5, 0
	s_lshl_b64 s[26:27], s[4:5], 3
	s_waitcnt lgkmcnt(0)
	s_add_u32 s4, s18, s26
	s_addc_u32 s5, s19, s27
	s_load_dwordx2 s[18:19], s[4:5], 0x0
	v_cmp_le_u32_e64 s[4:5], s10, v0
	v_cmp_gt_u32_e64 s[6:7], s10, v0
	s_and_saveexec_b64 s[22:23], s[6:7]
	s_cbranch_execz .LBB21_9
; %bb.2:
	s_load_dwordx4 s[12:15], s[0:1], 0x10
	s_load_dword s24, s[0:1], 0x20
	s_mul_i32 s3, s17, s2
	s_mul_hi_u32 s11, s16, s2
	s_mul_i32 s16, s16, s2
	s_waitcnt lgkmcnt(0)
	s_add_u32 s12, s12, s26
	s_addc_u32 s13, s13, s27
	s_load_dwordx2 s[12:13], s[12:13], 0x0
	s_add_i32 s17, s11, s3
	s_cmpk_lg_i32 s8, 0x7a
	s_mov_b64 s[26:27], -1
	s_cbranch_scc0 .LBB21_6
; %bb.3:
	s_add_i32 s11, s10, -1
	s_ashr_i32 s25, s24, 31
	s_mul_i32 s28, s25, s11
	s_mul_hi_u32 s29, s24, s11
	s_add_i32 s29, s29, s28
	s_mul_i32 s28, s24, s11
	s_lshl_b32 s3, s10, 3
	s_lshl_b64 s[26:27], s[16:17], 3
	s_lshl_b64 s[28:29], s[28:29], 3
	v_sub_u32_e32 v1, s11, v0
	s_add_u32 s11, s26, s28
	s_addc_u32 s28, s27, s29
	s_lshl_b64 s[26:27], s[14:15], 3
	s_add_u32 s11, s11, s26
	s_addc_u32 s27, s28, s27
	s_waitcnt lgkmcnt(0)
	s_add_u32 s26, s12, s11
	s_addc_u32 s27, s13, s27
	s_lshl_b64 s[28:29], s[24:25], 3
	v_lshlrev_b32_e32 v2, 3, v0
	v_mov_b32_e32 v3, 0
	s_sub_u32 s28, 0, s28
	v_lshlrev_b32_e32 v1, 3, v1
	v_lshl_add_u64 v[2:3], s[26:27], 0, v[2:3]
	s_mov_b64 s[26:27], 0
	s_subb_u32 s29, 0, s29
	s_mov_b32 s11, s10
.LBB21_4:                               ; =>This Inner Loop Header: Depth=1
	flat_load_dwordx2 v[4:5], v[2:3]
	s_add_i32 s11, s11, -1
	v_cmp_le_u32_e32 vcc, s11, v0
	v_lshl_add_u64 v[2:3], v[2:3], 0, s[28:29]
	s_or_b64 s[26:27], vcc, s[26:27]
	s_waitcnt vmcnt(0) lgkmcnt(0)
	ds_write_b64 v1, v[4:5]
	v_add_u32_e32 v1, s3, v1
	s_andn2_b64 exec, exec, s[26:27]
	s_cbranch_execnz .LBB21_4
; %bb.5:
	s_or_b64 exec, exec, s[26:27]
	s_mov_b64 s[26:27], 0
.LBB21_6:
	s_and_b64 vcc, exec, s[26:27]
	s_cbranch_vccz .LBB21_9
; %bb.7:
	s_lshl_b64 s[14:15], s[14:15], 3
	s_waitcnt lgkmcnt(0)
	s_add_u32 s3, s12, s14
	s_addc_u32 s11, s13, s15
	s_lshl_b64 s[12:13], s[16:17], 3
	s_add_u32 s12, s3, s12
	s_addc_u32 s13, s11, s13
	s_ashr_i32 s25, s24, 31
	v_lshlrev_b32_e32 v2, 3, v0
	v_mov_b32_e32 v3, 0
	v_lshl_add_u64 v[4:5], s[12:13], 0, v[2:3]
	v_add_u32_e32 v1, 1, v0
	s_lshl_b32 s3, s10, 3
	s_lshl_b64 s[12:13], s[24:25], 3
	s_mov_b64 s[14:15], 0
.LBB21_8:                               ; =>This Inner Loop Header: Depth=1
	flat_load_dwordx2 v[6:7], v[4:5]
	v_add_u32_e32 v1, -1, v1
	v_cmp_eq_u32_e32 vcc, 0, v1
	v_lshl_add_u64 v[4:5], v[4:5], 0, s[12:13]
	s_or_b64 s[14:15], vcc, s[14:15]
	s_waitcnt vmcnt(0) lgkmcnt(0)
	ds_write_b64 v2, v[6:7]
	v_add_u32_e32 v2, s3, v2
	s_andn2_b64 exec, exec, s[14:15]
	s_cbranch_execnz .LBB21_8
.LBB21_9:
	s_or_b64 exec, exec, s[22:23]
	s_waitcnt lgkmcnt(0)
	; wave barrier
                                        ; implicit-def: $vgpr2
	s_and_saveexec_b64 s[12:13], s[4:5]
	s_xor_b64 s[4:5], exec, s[12:13]
; %bb.10:
	v_mad_u64_u32 v[2:3], s[12:13], v0, s10, v[0:1]
; %bb.11:
	s_andn2_saveexec_b64 s[4:5], s[4:5]
	s_cbranch_execz .LBB21_17
; %bb.12:
	v_mad_u64_u32 v[2:3], s[12:13], v0, s10, v[0:1]
	s_cmpk_eq_i32 s9, 0x84
	v_lshlrev_b32_e32 v1, 3, v2
	v_mov_b64_e32 v[6:7], 1.0
	s_cbranch_scc1 .LBB21_16
; %bb.13:
	ds_read_b64 v[4:5], v1
	v_mov_b64_e32 v[6:7], 1.0
	s_waitcnt lgkmcnt(0)
	v_cmp_neq_f64_e32 vcc, 0, v[4:5]
	s_and_saveexec_b64 s[12:13], vcc
	s_cbranch_execz .LBB21_15
; %bb.14:
	v_div_scale_f64 v[6:7], s[14:15], v[4:5], v[4:5], 1.0
	v_rcp_f64_e32 v[8:9], v[6:7]
	v_div_scale_f64 v[10:11], vcc, 1.0, v[4:5], 1.0
	v_fma_f64 v[12:13], -v[6:7], v[8:9], 1.0
	v_fmac_f64_e32 v[8:9], v[8:9], v[12:13]
	v_fma_f64 v[12:13], -v[6:7], v[8:9], 1.0
	v_fmac_f64_e32 v[8:9], v[8:9], v[12:13]
	v_mul_f64 v[12:13], v[10:11], v[8:9]
	v_fma_f64 v[6:7], -v[6:7], v[12:13], v[10:11]
	v_div_fmas_f64 v[6:7], v[6:7], v[8:9], v[12:13]
	v_div_fixup_f64 v[6:7], v[6:7], v[4:5], 1.0
.LBB21_15:
	s_or_b64 exec, exec, s[12:13]
.LBB21_16:
	ds_write_b64 v1, v[6:7]
.LBB21_17:
	s_or_b64 exec, exec, s[4:5]
	v_lshlrev_b32_e32 v1, 3, v0
	s_lshl_b32 s9, s10, 3
	v_lshlrev_b32_e32 v4, 3, v2
	s_mov_b32 s3, 8
	s_add_i32 s11, s9, 8
	v_add_u32_e32 v5, s9, v1
	s_mov_b32 s12, 0
	s_waitcnt lgkmcnt(0)
	; wave barrier
	s_branch .LBB21_19
.LBB21_18:                              ;   in Loop: Header=BB21_19 Depth=1
	s_add_i32 s3, s3, s11
	s_cmp_eq_u32 s12, s10
	v_add_u32_e32 v5, s9, v5
	; wave barrier
	s_cbranch_scc1 .LBB21_28
.LBB21_19:                              ; =>This Loop Header: Depth=1
                                        ;     Child Loop BB21_24 Depth 2
	v_cmp_lt_u32_e32 vcc, s12, v0
	s_mul_i32 s13, s12, s10
	v_mov_b64_e32 v[2:3], 0
	s_and_saveexec_b64 s[4:5], vcc
	s_cbranch_execz .LBB21_21
; %bb.20:                               ;   in Loop: Header=BB21_19 Depth=1
	s_lshl_b32 s14, s12, 3
	s_lshl_b32 s15, s13, 3
	s_add_i32 s14, s14, s15
	v_add_u32_e32 v2, s15, v1
	v_mov_b32_e32 v6, s14
	ds_read_b64 v[2:3], v2
	ds_read_b64 v[6:7], v6
	s_waitcnt lgkmcnt(0)
	v_fma_f64 v[2:3], v[2:3], v[6:7], 0
.LBB21_21:                              ;   in Loop: Header=BB21_19 Depth=1
	s_or_b64 exec, exec, s[4:5]
	s_add_i32 s12, s12, 1
	s_cmp_ge_i32 s12, s10
	; wave barrier
	s_cbranch_scc1 .LBB21_18
; %bb.22:                               ;   in Loop: Header=BB21_19 Depth=1
	v_lshl_add_u32 v6, s13, 3, v1
	v_mov_b32_e32 v7, v5
	s_mov_b32 s13, s3
	s_mov_b32 s14, s12
	s_branch .LBB21_24
.LBB21_23:                              ;   in Loop: Header=BB21_24 Depth=2
	s_or_b64 exec, exec, s[4:5]
	s_add_i32 s14, s14, 1
	s_add_i32 s13, s13, 8
	s_cmp_eq_u32 s10, s14
	v_add_u32_e32 v7, s9, v7
	; wave barrier
	s_cbranch_scc1 .LBB21_18
.LBB21_24:                              ;   Parent Loop BB21_19 Depth=1
                                        ; =>  This Inner Loop Header: Depth=2
	v_cmp_eq_u32_e32 vcc, s14, v0
	s_and_saveexec_b64 s[4:5], vcc
	s_cbranch_execz .LBB21_26
; %bb.25:                               ;   in Loop: Header=BB21_24 Depth=2
	ds_read_b64 v[8:9], v4
	v_add_f64 v[10:11], -v[2:3], 0
	s_waitcnt lgkmcnt(0)
	v_mul_f64 v[8:9], v[10:11], v[8:9]
	ds_write_b64 v6, v[8:9]
.LBB21_26:                              ;   in Loop: Header=BB21_24 Depth=2
	s_or_b64 exec, exec, s[4:5]
	v_cmp_lt_u32_e32 vcc, s14, v0
	s_waitcnt lgkmcnt(0)
	; wave barrier
	s_and_saveexec_b64 s[4:5], vcc
	s_cbranch_execz .LBB21_23
; %bb.27:                               ;   in Loop: Header=BB21_24 Depth=2
	v_mov_b32_e32 v10, s13
	ds_read_b64 v[8:9], v7
	ds_read_b64 v[10:11], v10
	s_waitcnt lgkmcnt(0)
	v_fmac_f64_e32 v[2:3], v[8:9], v[10:11]
	s_branch .LBB21_23
.LBB21_28:
	s_and_saveexec_b64 s[4:5], s[6:7]
	s_cbranch_execz .LBB21_36
; %bb.29:
	s_load_dwordx2 s[6:7], s[0:1], 0x58
	s_load_dword s4, s[0:1], 0x48
	s_waitcnt lgkmcnt(0)
	s_mul_i32 s0, s7, s2
	s_mul_hi_u32 s1, s6, s2
	s_add_i32 s1, s1, s0
	s_mul_i32 s0, s6, s2
	s_cmpk_lg_i32 s8, 0x7a
	s_mov_b64 s[2:3], -1
	s_cbranch_scc0 .LBB21_33
; %bb.30:
	s_add_i32 s6, s10, -1
	s_ashr_i32 s5, s4, 31
	s_mul_i32 s7, s5, s6
	s_mul_hi_u32 s8, s4, s6
	v_sub_u32_e32 v2, s6, v0
	s_add_i32 s7, s8, s7
	s_mul_i32 s6, s4, s6
	s_lshl_b64 s[2:3], s[0:1], 3
	s_lshl_b64 s[6:7], s[6:7], 3
	s_add_u32 s6, s2, s6
	s_addc_u32 s7, s3, s7
	s_lshl_b64 s[2:3], s[20:21], 3
	s_add_u32 s2, s6, s2
	s_addc_u32 s3, s7, s3
	s_add_u32 s2, s18, s2
	s_addc_u32 s3, s19, s3
	s_lshl_b64 s[6:7], s[4:5], 3
	v_lshlrev_b32_e32 v4, 3, v2
	v_lshlrev_b32_e32 v2, 3, v0
	v_mov_b32_e32 v3, 0
	s_sub_u32 s6, 0, s6
	v_lshl_add_u64 v[2:3], s[2:3], 0, v[2:3]
	s_mov_b64 s[2:3], 0
	s_subb_u32 s7, 0, s7
.LBB21_31:                              ; =>This Inner Loop Header: Depth=1
	ds_read_b64 v[6:7], v4
	s_add_i32 s10, s10, -1
	v_cmp_le_u32_e32 vcc, s10, v0
	v_add_u32_e32 v4, s9, v4
	s_or_b64 s[2:3], vcc, s[2:3]
	s_waitcnt lgkmcnt(0)
	flat_store_dwordx2 v[2:3], v[6:7]
	v_lshl_add_u64 v[2:3], v[2:3], 0, s[6:7]
	s_andn2_b64 exec, exec, s[2:3]
	s_cbranch_execnz .LBB21_31
; %bb.32:
	s_or_b64 exec, exec, s[2:3]
	s_mov_b64 s[2:3], 0
.LBB21_33:
	s_and_b64 vcc, exec, s[2:3]
	s_cbranch_vccz .LBB21_36
; %bb.34:
	s_lshl_b64 s[2:3], s[20:21], 3
	s_add_u32 s2, s18, s2
	s_addc_u32 s3, s19, s3
	s_lshl_b64 s[0:1], s[0:1], 3
	s_add_u32 s0, s2, s0
	s_addc_u32 s1, s3, s1
	s_ashr_i32 s5, s4, 31
	v_lshlrev_b32_e32 v2, 3, v0
	v_mov_b32_e32 v3, 0
	v_lshl_add_u64 v[2:3], s[0:1], 0, v[2:3]
	v_add_u32_e32 v0, 1, v0
	s_lshl_b64 s[0:1], s[4:5], 3
	s_mov_b64 s[2:3], 0
.LBB21_35:                              ; =>This Inner Loop Header: Depth=1
	ds_read_b64 v[4:5], v1
	v_add_u32_e32 v0, -1, v0
	v_cmp_eq_u32_e32 vcc, 0, v0
	v_add_u32_e32 v1, s9, v1
	s_or_b64 s[2:3], vcc, s[2:3]
	s_waitcnt lgkmcnt(0)
	flat_store_dwordx2 v[2:3], v[4:5]
	v_lshl_add_u64 v[2:3], v[2:3], 0, s[0:1]
	s_andn2_b64 exec, exec, s[2:3]
	s_cbranch_execnz .LBB21_35
.LBB21_36:
	s_endpgm
	.section	.rodata,"a",@progbits
	.p2align	6, 0x0
	.amdhsa_kernel _ZL26rocblas_trtri_small_kernelILi16EdPKPKdPKPdEv13rocblas_fill_17rocblas_diagonal_iT1_lillT2_lilli
		.amdhsa_group_segment_fixed_size 2048
		.amdhsa_private_segment_fixed_size 0
		.amdhsa_kernarg_size 100
		.amdhsa_user_sgpr_count 2
		.amdhsa_user_sgpr_dispatch_ptr 0
		.amdhsa_user_sgpr_queue_ptr 0
		.amdhsa_user_sgpr_kernarg_segment_ptr 1
		.amdhsa_user_sgpr_dispatch_id 0
		.amdhsa_user_sgpr_kernarg_preload_length 0
		.amdhsa_user_sgpr_kernarg_preload_offset 0
		.amdhsa_user_sgpr_private_segment_size 0
		.amdhsa_uses_dynamic_stack 0
		.amdhsa_enable_private_segment 0
		.amdhsa_system_sgpr_workgroup_id_x 1
		.amdhsa_system_sgpr_workgroup_id_y 0
		.amdhsa_system_sgpr_workgroup_id_z 1
		.amdhsa_system_sgpr_workgroup_info 0
		.amdhsa_system_vgpr_workitem_id 0
		.amdhsa_next_free_vgpr 14
		.amdhsa_next_free_sgpr 30
		.amdhsa_accum_offset 16
		.amdhsa_reserve_vcc 1
		.amdhsa_float_round_mode_32 0
		.amdhsa_float_round_mode_16_64 0
		.amdhsa_float_denorm_mode_32 3
		.amdhsa_float_denorm_mode_16_64 3
		.amdhsa_dx10_clamp 1
		.amdhsa_ieee_mode 1
		.amdhsa_fp16_overflow 0
		.amdhsa_tg_split 0
		.amdhsa_exception_fp_ieee_invalid_op 0
		.amdhsa_exception_fp_denorm_src 0
		.amdhsa_exception_fp_ieee_div_zero 0
		.amdhsa_exception_fp_ieee_overflow 0
		.amdhsa_exception_fp_ieee_underflow 0
		.amdhsa_exception_fp_ieee_inexact 0
		.amdhsa_exception_int_div_zero 0
	.end_amdhsa_kernel
	.section	.text._ZL26rocblas_trtri_small_kernelILi16EdPKPKdPKPdEv13rocblas_fill_17rocblas_diagonal_iT1_lillT2_lilli,"axG",@progbits,_ZL26rocblas_trtri_small_kernelILi16EdPKPKdPKPdEv13rocblas_fill_17rocblas_diagonal_iT1_lillT2_lilli,comdat
.Lfunc_end21:
	.size	_ZL26rocblas_trtri_small_kernelILi16EdPKPKdPKPdEv13rocblas_fill_17rocblas_diagonal_iT1_lillT2_lilli, .Lfunc_end21-_ZL26rocblas_trtri_small_kernelILi16EdPKPKdPKPdEv13rocblas_fill_17rocblas_diagonal_iT1_lillT2_lilli
                                        ; -- End function
	.set _ZL26rocblas_trtri_small_kernelILi16EdPKPKdPKPdEv13rocblas_fill_17rocblas_diagonal_iT1_lillT2_lilli.num_vgpr, 14
	.set _ZL26rocblas_trtri_small_kernelILi16EdPKPKdPKPdEv13rocblas_fill_17rocblas_diagonal_iT1_lillT2_lilli.num_agpr, 0
	.set _ZL26rocblas_trtri_small_kernelILi16EdPKPKdPKPdEv13rocblas_fill_17rocblas_diagonal_iT1_lillT2_lilli.numbered_sgpr, 30
	.set _ZL26rocblas_trtri_small_kernelILi16EdPKPKdPKPdEv13rocblas_fill_17rocblas_diagonal_iT1_lillT2_lilli.num_named_barrier, 0
	.set _ZL26rocblas_trtri_small_kernelILi16EdPKPKdPKPdEv13rocblas_fill_17rocblas_diagonal_iT1_lillT2_lilli.private_seg_size, 0
	.set _ZL26rocblas_trtri_small_kernelILi16EdPKPKdPKPdEv13rocblas_fill_17rocblas_diagonal_iT1_lillT2_lilli.uses_vcc, 1
	.set _ZL26rocblas_trtri_small_kernelILi16EdPKPKdPKPdEv13rocblas_fill_17rocblas_diagonal_iT1_lillT2_lilli.uses_flat_scratch, 0
	.set _ZL26rocblas_trtri_small_kernelILi16EdPKPKdPKPdEv13rocblas_fill_17rocblas_diagonal_iT1_lillT2_lilli.has_dyn_sized_stack, 0
	.set _ZL26rocblas_trtri_small_kernelILi16EdPKPKdPKPdEv13rocblas_fill_17rocblas_diagonal_iT1_lillT2_lilli.has_recursion, 0
	.set _ZL26rocblas_trtri_small_kernelILi16EdPKPKdPKPdEv13rocblas_fill_17rocblas_diagonal_iT1_lillT2_lilli.has_indirect_call, 0
	.section	.AMDGPU.csdata,"",@progbits
; Kernel info:
; codeLenInByte = 1248
; TotalNumSgprs: 36
; NumVgprs: 14
; NumAgprs: 0
; TotalNumVgprs: 14
; ScratchSize: 0
; MemoryBound: 0
; FloatMode: 240
; IeeeMode: 1
; LDSByteSize: 2048 bytes/workgroup (compile time only)
; SGPRBlocks: 4
; VGPRBlocks: 1
; NumSGPRsForWavesPerEU: 36
; NumVGPRsForWavesPerEU: 14
; AccumOffset: 16
; Occupancy: 8
; WaveLimiterHint : 0
; COMPUTE_PGM_RSRC2:SCRATCH_EN: 0
; COMPUTE_PGM_RSRC2:USER_SGPR: 2
; COMPUTE_PGM_RSRC2:TRAP_HANDLER: 0
; COMPUTE_PGM_RSRC2:TGID_X_EN: 1
; COMPUTE_PGM_RSRC2:TGID_Y_EN: 0
; COMPUTE_PGM_RSRC2:TGID_Z_EN: 1
; COMPUTE_PGM_RSRC2:TIDIG_COMP_CNT: 0
; COMPUTE_PGM_RSRC3_GFX90A:ACCUM_OFFSET: 3
; COMPUTE_PGM_RSRC3_GFX90A:TG_SPLIT: 0
	.section	.text._ZL29rocblas_trtri_diagonal_kernelILi16EdPKPKdPKPdEv13rocblas_fill_17rocblas_diagonal_iT1_lillT2_lilli,"axG",@progbits,_ZL29rocblas_trtri_diagonal_kernelILi16EdPKPKdPKPdEv13rocblas_fill_17rocblas_diagonal_iT1_lillT2_lilli,comdat
	.globl	_ZL29rocblas_trtri_diagonal_kernelILi16EdPKPKdPKPdEv13rocblas_fill_17rocblas_diagonal_iT1_lillT2_lilli ; -- Begin function _ZL29rocblas_trtri_diagonal_kernelILi16EdPKPKdPKPdEv13rocblas_fill_17rocblas_diagonal_iT1_lillT2_lilli
	.p2align	8
	.type	_ZL29rocblas_trtri_diagonal_kernelILi16EdPKPKdPKPdEv13rocblas_fill_17rocblas_diagonal_iT1_lillT2_lilli,@function
_ZL29rocblas_trtri_diagonal_kernelILi16EdPKPKdPKPdEv13rocblas_fill_17rocblas_diagonal_iT1_lillT2_lilli: ; @_ZL29rocblas_trtri_diagonal_kernelILi16EdPKPKdPKPdEv13rocblas_fill_17rocblas_diagonal_iT1_lillT2_lilli
; %bb.0:
	s_load_dwordx4 s[8:11], s[0:1], 0x0
	s_mov_b32 s4, s3
	s_waitcnt lgkmcnt(0)
	s_ashr_i32 s3, s10, 31
	s_lshr_b32 s3, s3, 27
	s_add_i32 s3, s10, s3
	s_ashr_i32 s3, s3, 5
	v_cvt_f32_u32_e32 v1, s3
	s_sub_i32 s5, 0, s3
	v_rcp_iflag_f32_e32 v1, v1
	s_nop 0
	v_mul_f32_e32 v1, 0x4f7ffffe, v1
	v_cvt_u32_f32_e32 v1, v1
	s_nop 0
	v_readfirstlane_b32 s6, v1
	s_mul_i32 s5, s5, s6
	s_mul_hi_u32 s5, s6, s5
	s_add_i32 s6, s6, s5
	s_mul_hi_u32 s5, s2, s6
	s_mul_i32 s6, s5, s3
	s_sub_i32 s6, s2, s6
	s_add_i32 s7, s5, 1
	s_sub_i32 s11, s6, s3
	s_cmp_ge_u32 s6, s3
	s_cselect_b32 s5, s7, s5
	s_cselect_b32 s6, s11, s6
	s_add_i32 s7, s5, 1
	s_cmp_ge_u32 s6, s3
	s_cselect_b32 s30, s7, s5
	s_mul_i32 s3, s30, s3
	s_sub_i32 s31, s2, s3
	s_lshl_b32 s2, s31, 4
	s_cmp_eq_u32 s10, s2
	s_mov_b32 s5, 0
	s_cbranch_scc1 .LBB22_89
; %bb.1:
	s_load_dwordx4 s[12:15], s[0:1], 0x10
	s_load_dwordx4 s[16:19], s[0:1], 0x30
	s_load_dwordx2 s[20:21], s[0:1], 0x40
	s_lshl_b64 s[4:5], s[4:5], 3
	v_mov_b32_e32 v2, v0
	s_waitcnt lgkmcnt(0)
	s_add_u32 s6, s12, s4
	s_addc_u32 s7, s13, s5
	s_add_u32 s4, s18, s4
	s_addc_u32 s5, s19, s5
	s_load_dwordx2 s[22:23], s[6:7], 0x0
	s_load_dwordx2 s[12:13], s[4:5], 0x0
	s_sub_i32 s29, s10, s2
	s_min_u32 s28, s29, 16
	s_lshl_b32 s24, s28, 1
	v_cmp_gt_u32_e64 s[6:7], s28, v0
	v_cmp_le_u32_e64 s[4:5], s28, v0
	v_cmp_gt_u32_e64 s[2:3], s24, v0
	v_cmp_le_u32_e32 vcc, s24, v0
	s_and_saveexec_b64 s[10:11], s[4:5]
	s_cbranch_execz .LBB22_7
; %bb.2:
                                        ; implicit-def: $vgpr2
	s_and_saveexec_b64 s[18:19], vcc
	s_xor_b64 s[18:19], exec, s[18:19]
; %bb.3:
	v_subrev_u32_e32 v2, s24, v0
; %bb.4:
	s_andn2_saveexec_b64 s[18:19], s[18:19]
; %bb.5:
	v_subrev_u32_e32 v2, s28, v0
; %bb.6:
	s_or_b64 exec, exec, s[18:19]
.LBB22_7:
	s_or_b64 exec, exec, s[10:11]
	s_load_dword s10, s[0:1], 0x20
	v_mov_b32_e32 v1, 0x1800
	v_mov_b32_e32 v3, 0x1000
	v_cndmask_b32_e64 v1, 0, v1, s[2:3]
	v_cndmask_b32_e64 v8, v1, v3, s[6:7]
	s_waitcnt lgkmcnt(0)
	s_ashr_i32 s11, s10, 31
	s_lshl_b64 s[6:7], s[10:11], 5
	s_add_u32 s6, s6, 32
	s_addc_u32 s7, s7, 0
	s_mul_i32 s7, s7, s31
	s_mul_hi_u32 s18, s6, s31
	s_add_i32 s7, s18, s7
	s_mul_i32 s17, s17, s30
	s_mul_hi_u32 s18, s16, s30
	s_mul_i32 s6, s6, s31
	s_add_i32 s17, s18, s17
	s_mul_i32 s16, s16, s30
	s_and_saveexec_b64 s[18:19], vcc
	s_xor_b64 s[18:19], exec, s[18:19]
	s_cbranch_execz .LBB22_17
; %bb.8:
	s_mul_i32 s24, s28, 3
	v_cmp_gt_u32_e32 vcc, s24, v0
	s_and_saveexec_b64 s[24:25], vcc
	s_cbranch_execz .LBB22_16
; %bb.9:
	s_cmpk_eq_i32 s8, 0x7a
	s_mov_b64 s[26:27], -1
	s_cbranch_scc1 .LBB22_13
; %bb.10:
	s_add_i32 s26, s28, -1
	s_mul_i32 s27, s28, s26
	s_lshl_b32 s35, s28, 3
	s_add_i32 s33, s28, 1
	s_lshl_b32 s27, s27, 3
	v_lshlrev_b32_e32 v1, 3, v2
	s_sub_i32 s34, 0, s35
	s_lshl_b64 s[36:37], s[16:17], 3
	s_lshl_b64 s[38:39], s[6:7], 3
	v_add3_u32 v1, s27, v1, v8
	s_mov_b32 s27, 0
	s_add_u32 s36, s36, s38
	s_addc_u32 s37, s37, s39
	s_lshl_b64 s[26:27], s[26:27], 3
	s_add_u32 s26, s35, s26
	s_addc_u32 s27, 0, s27
	s_mul_i32 s35, s26, s11
	s_mul_hi_u32 s38, s26, s10
	s_add_i32 s35, s38, s35
	s_mul_i32 s27, s27, s10
	s_add_i32 s35, s35, s27
	s_mul_i32 s26, s26, s10
	s_add_u32 s36, s36, s26
	s_addc_u32 s35, s37, s35
	s_lshl_b64 s[26:27], s[14:15], 3
	s_add_u32 s26, s36, s26
	s_addc_u32 s27, s35, s27
	s_add_u32 s26, s22, s26
	v_ashrrev_i32_e32 v3, 31, v2
	s_addc_u32 s27, s23, s27
	v_lshl_add_u64 v[4:5], v[2:3], 3, s[26:27]
	s_lshl_b64 s[26:27], s[10:11], 3
	s_sub_u32 s26, 0, s26
	s_subb_u32 s27, 0, s27
.LBB22_11:                              ; =>This Inner Loop Header: Depth=1
	flat_load_dwordx2 v[6:7], v[4:5]
	s_add_i32 s33, s33, -1
	v_lshl_add_u64 v[4:5], v[4:5], 0, s[26:27]
	s_cmp_gt_u32 s33, 1
	s_waitcnt vmcnt(0) lgkmcnt(0)
	ds_write_b64 v1, v[6:7]
	v_add_u32_e32 v1, s34, v1
	s_cbranch_scc1 .LBB22_11
; %bb.12:
	s_mov_b64 s[26:27], 0
.LBB22_13:
	s_and_b64 vcc, exec, s[26:27]
	s_cbranch_vccz .LBB22_16
; %bb.14:
	s_lshl_b64 s[26:27], s[14:15], 3
	s_add_u32 s33, s22, s26
	s_addc_u32 s34, s23, s27
	s_lshl_b64 s[26:27], s[6:7], 3
	s_add_u32 s33, s33, s26
	s_addc_u32 s34, s34, s27
	s_lshl_b64 s[26:27], s[16:17], 3
	s_add_u32 s26, s33, s26
	v_add_u32_e32 v4, s28, v2
	s_addc_u32 s27, s34, s27
	v_ashrrev_i32_e32 v5, 31, v4
	v_lshl_add_u64 v[4:5], v[4:5], 3, s[26:27]
	v_lshl_add_u32 v1, v2, 3, v8
	s_lshl_b32 s33, s28, 3
	s_lshl_b64 s[26:27], s[10:11], 3
	s_mov_b32 s34, s28
.LBB22_15:                              ; =>This Inner Loop Header: Depth=1
	flat_load_dwordx2 v[6:7], v[4:5]
	s_add_i32 s34, s34, -1
	v_lshl_add_u64 v[4:5], v[4:5], 0, s[26:27]
	s_cmp_eq_u32 s34, 0
	s_waitcnt vmcnt(0) lgkmcnt(0)
	ds_write_b64 v1, v[6:7]
	v_add_u32_e32 v1, s33, v1
	s_cbranch_scc0 .LBB22_15
.LBB22_16:
	s_or_b64 exec, exec, s[24:25]
.LBB22_17:
	s_andn2_saveexec_b64 s[18:19], s[18:19]
	s_cbranch_execz .LBB22_31
; %bb.18:
	v_mov_b64_e32 v[4:5], 0
	s_and_saveexec_b64 s[24:25], s[4:5]
	s_cbranch_execnz .LBB22_21
; %bb.19:
	s_or_b64 exec, exec, s[24:25]
	s_cmpk_lg_i32 s8, 0x7a
	s_mov_b64 s[24:25], -1
	s_cbranch_scc1 .LBB22_22
.LBB22_20:
	s_and_b64 vcc, exec, s[24:25]
	s_cbranch_vccnz .LBB22_27
	s_branch .LBB22_31
.LBB22_21:
	s_add_u32 s26, s10, 1
	s_addc_u32 s27, s11, 0
	s_mul_i32 s27, s27, s28
	s_mul_hi_u32 s33, s26, s28
	s_add_i32 s27, s33, s27
	s_mul_i32 s26, s26, s28
	v_mov_b64_e32 v[4:5], s[26:27]
	s_or_b64 exec, exec, s[24:25]
	s_cmpk_lg_i32 s8, 0x7a
	s_mov_b64 s[24:25], -1
	s_cbranch_scc0 .LBB22_20
.LBB22_22:
	s_add_i32 s33, s28, -1
	s_lshl_b64 s[24:25], s[16:17], 3
	s_lshl_b64 s[26:27], s[6:7], 3
	s_add_u32 s26, s24, s26
	s_addc_u32 s27, s25, s27
	s_mul_i32 s24, s11, s33
	s_mul_hi_u32 s25, s10, s33
	s_add_i32 s25, s25, s24
	s_mul_i32 s24, s10, s33
	s_lshl_b64 s[24:25], s[24:25], 3
	s_add_u32 s26, s26, s24
	s_addc_u32 s27, s27, s25
	s_lshl_b64 s[24:25], s[14:15], 3
	s_add_u32 s24, s24, s26
	s_addc_u32 s25, s25, s27
	v_ashrrev_i32_e32 v3, 31, v2
	v_lshl_add_u64 v[6:7], v[4:5], 3, s[24:25]
	s_lshl_b64 s[24:25], s[10:11], 3
	v_sub_u32_e32 v1, s33, v2
	v_lshl_add_u64 v[6:7], v[2:3], 3, v[6:7]
	s_sub_u32 s24, 0, s24
	v_lshl_add_u32 v1, v1, 3, v8
	v_lshl_add_u64 v[6:7], s[22:23], 0, v[6:7]
	s_subb_u32 s25, 0, s25
	s_lshl_b32 s33, s28, 3
	s_mov_b32 s34, s28
	s_branch .LBB22_24
.LBB22_23:                              ;   in Loop: Header=BB22_24 Depth=1
	s_or_b64 exec, exec, s[26:27]
	s_waitcnt vmcnt(0) lgkmcnt(0)
	ds_write_b64 v1, v[10:11]
	v_lshl_add_u64 v[6:7], v[6:7], 0, s[24:25]
	s_cmp_lt_i32 s34, 1
	v_add_u32_e32 v1, s33, v1
	s_cbranch_scc1 .LBB22_26
.LBB22_24:                              ; =>This Inner Loop Header: Depth=1
	s_add_i32 s34, s34, -1
	v_cmp_ge_i32_e32 vcc, s34, v2
	v_mov_b64_e32 v[10:11], 0
	s_and_saveexec_b64 s[26:27], vcc
	s_cbranch_execz .LBB22_23
; %bb.25:                               ;   in Loop: Header=BB22_24 Depth=1
	flat_load_dwordx2 v[10:11], v[6:7]
	s_branch .LBB22_23
.LBB22_26:
	s_branch .LBB22_31
.LBB22_27:
	s_lshl_b64 s[16:17], s[16:17], 3
	s_lshl_b64 s[6:7], s[6:7], 3
	s_add_u32 s16, s16, s6
	s_addc_u32 s17, s17, s7
	s_lshl_b64 s[6:7], s[14:15], 3
	s_add_u32 s6, s6, s16
	s_addc_u32 s7, s7, s17
	v_ashrrev_i32_e32 v3, 31, v2
	v_lshl_add_u64 v[4:5], v[4:5], 3, s[6:7]
	v_lshl_add_u64 v[4:5], v[2:3], 3, v[4:5]
	v_lshl_add_u32 v1, v2, 3, v8
	v_lshl_add_u64 v[4:5], s[22:23], 0, v[4:5]
	s_lshl_b64 s[6:7], s[10:11], 3
	s_lshl_b32 s14, s28, 3
	s_mov_b32 s15, 0
	s_branch .LBB22_29
.LBB22_28:                              ;   in Loop: Header=BB22_29 Depth=1
	s_or_b64 exec, exec, s[10:11]
	s_add_i32 s15, s15, 1
	s_waitcnt vmcnt(0) lgkmcnt(0)
	ds_write_b64 v1, v[6:7]
	v_lshl_add_u64 v[4:5], v[4:5], 0, s[6:7]
	s_cmp_eq_u32 s28, s15
	v_add_u32_e32 v1, s14, v1
	s_cbranch_scc1 .LBB22_31
.LBB22_29:                              ; =>This Inner Loop Header: Depth=1
	v_cmp_le_i32_e32 vcc, s15, v2
	v_mov_b64_e32 v[6:7], 0
	s_and_saveexec_b64 s[10:11], vcc
	s_cbranch_execz .LBB22_28
; %bb.30:                               ;   in Loop: Header=BB22_29 Depth=1
	flat_load_dwordx2 v[6:7], v[4:5]
	s_branch .LBB22_28
.LBB22_31:
	s_or_b64 exec, exec, s[18:19]
	s_waitcnt lgkmcnt(0)
	s_barrier
	s_and_saveexec_b64 s[6:7], s[2:3]
	s_cbranch_execz .LBB22_37
; %bb.32:
	s_add_i32 s10, s28, 1
	v_mul_i32_i24_e32 v1, s10, v2
	s_cmpk_eq_i32 s9, 0x84
	v_lshl_add_u32 v1, v1, 3, v8
	v_mov_b64_e32 v[6:7], 1.0
	s_cbranch_scc1 .LBB22_36
; %bb.33:
	ds_read_b64 v[4:5], v1
	v_mov_b64_e32 v[6:7], 1.0
	s_waitcnt lgkmcnt(0)
	v_cmp_neq_f64_e32 vcc, 0, v[4:5]
	s_and_saveexec_b64 s[10:11], vcc
	s_cbranch_execz .LBB22_35
; %bb.34:
	v_div_scale_f64 v[6:7], s[14:15], v[4:5], v[4:5], 1.0
	v_rcp_f64_e32 v[10:11], v[6:7]
	v_div_scale_f64 v[12:13], vcc, 1.0, v[4:5], 1.0
	v_fma_f64 v[14:15], -v[6:7], v[10:11], 1.0
	v_fmac_f64_e32 v[10:11], v[10:11], v[14:15]
	v_fma_f64 v[14:15], -v[6:7], v[10:11], 1.0
	v_fmac_f64_e32 v[10:11], v[10:11], v[14:15]
	v_mul_f64 v[14:15], v[12:13], v[10:11]
	v_fma_f64 v[6:7], -v[6:7], v[14:15], v[12:13]
	v_div_fmas_f64 v[6:7], v[6:7], v[10:11], v[14:15]
	v_div_fixup_f64 v[6:7], v[6:7], v[4:5], 1.0
.LBB22_35:
	s_or_b64 exec, exec, s[10:11]
.LBB22_36:
	ds_write_b64 v1, v[6:7]
.LBB22_37:
	s_or_b64 exec, exec, s[6:7]
	s_waitcnt lgkmcnt(0)
	s_barrier
	s_and_saveexec_b64 s[6:7], s[2:3]
	s_cbranch_execz .LBB22_49
; %bb.38:
	s_add_i32 s9, s28, 1
	v_lshlrev_b32_e32 v4, 3, v2
	v_mul_i32_i24_e32 v3, s9, v2
	s_lshl_b32 s9, s28, 3
	v_add_u32_e32 v1, v8, v4
	v_lshl_add_u32 v3, v3, 3, v8
	v_add_u32_e32 v6, 8, v8
	s_add_i32 s14, s9, 8
	v_add3_u32 v7, v4, s9, v8
	s_mov_b32 s15, 0
	s_branch .LBB22_40
.LBB22_39:                              ;   in Loop: Header=BB22_40 Depth=1
	v_add_u32_e32 v6, s14, v6
	s_cmp_eq_u32 s15, s28
	v_add_u32_e32 v7, s9, v7
	s_cbranch_scc1 .LBB22_49
.LBB22_40:                              ; =>This Loop Header: Depth=1
                                        ;     Child Loop BB22_45 Depth 2
	v_cmp_lt_i32_e32 vcc, s15, v2
	s_mul_i32 s16, s15, s28
	v_mov_b64_e32 v[4:5], 0
	s_and_saveexec_b64 s[10:11], vcc
	s_cbranch_execz .LBB22_42
; %bb.41:                               ;   in Loop: Header=BB22_40 Depth=1
	s_lshl_b32 s17, s15, 3
	s_lshl_b32 s18, s16, 3
	s_add_i32 s17, s18, s17
	v_add_u32_e32 v4, s18, v1
	v_add_u32_e32 v9, s17, v8
	ds_read_b64 v[4:5], v4
	ds_read_b64 v[10:11], v9
	s_waitcnt lgkmcnt(0)
	v_fma_f64 v[4:5], v[4:5], v[10:11], 0
.LBB22_42:                              ;   in Loop: Header=BB22_40 Depth=1
	s_or_b64 exec, exec, s[10:11]
	s_add_i32 s15, s15, 1
	s_cmp_ge_u32 s15, s28
	s_cbranch_scc1 .LBB22_39
; %bb.43:                               ;   in Loop: Header=BB22_40 Depth=1
	v_lshl_add_u32 v9, s16, 3, v1
	v_mov_b32_e32 v10, v7
	v_mov_b32_e32 v11, v6
	s_mov_b32 s16, s15
	s_branch .LBB22_45
.LBB22_44:                              ;   in Loop: Header=BB22_45 Depth=2
	s_or_b64 exec, exec, s[10:11]
	s_add_i32 s16, s16, 1
	v_add_u32_e32 v11, 8, v11
	s_cmp_eq_u32 s28, s16
	v_add_u32_e32 v10, s9, v10
	s_cbranch_scc1 .LBB22_39
.LBB22_45:                              ;   Parent Loop BB22_40 Depth=1
                                        ; =>  This Inner Loop Header: Depth=2
	v_cmp_eq_u32_e32 vcc, s16, v2
	s_and_saveexec_b64 s[10:11], vcc
	s_cbranch_execz .LBB22_47
; %bb.46:                               ;   in Loop: Header=BB22_45 Depth=2
	ds_read_b64 v[12:13], v3
	v_add_f64 v[14:15], -v[4:5], 0
	s_waitcnt lgkmcnt(0)
	v_mul_f64 v[12:13], v[14:15], v[12:13]
	ds_write_b64 v9, v[12:13]
.LBB22_47:                              ;   in Loop: Header=BB22_45 Depth=2
	s_or_b64 exec, exec, s[10:11]
	v_cmp_lt_i32_e32 vcc, s16, v2
	s_and_saveexec_b64 s[10:11], vcc
	s_cbranch_execz .LBB22_44
; %bb.48:                               ;   in Loop: Header=BB22_45 Depth=2
	ds_read_b64 v[12:13], v10
	ds_read_b64 v[14:15], v11
	s_waitcnt lgkmcnt(0)
	v_fmac_f64_e32 v[4:5], v[12:13], v[14:15]
	s_branch .LBB22_44
.LBB22_49:
	s_or_b64 exec, exec, s[6:7]
	s_and_b32 s6, s28, 0xffff
	v_cvt_f32_u32_e32 v1, s6
	v_cvt_f32_ubyte0_e32 v3, v0
	s_cmpk_lg_i32 s8, 0x7a
	s_cselect_b64 s[8:9], -1, 0
	v_rcp_iflag_f32_e32 v4, v1
	s_mul_i32 s6, s28, s28
	v_cmp_gt_u32_e64 s[6:7], s6, v0
	s_mov_b64 s[10:11], -1
	v_mul_f32_e32 v4, v3, v4
	v_trunc_f32_e32 v4, v4
	v_cvt_u32_f32_e32 v5, v4
	v_fma_f32 v3, -v4, v1, v3
	v_cmp_ge_f32_e64 vcc, |v3|, v1
	s_waitcnt lgkmcnt(0)
	s_barrier
	v_addc_co_u32_e32 v1, vcc, 0, v5, vcc
	v_and_b32_e32 v6, 0xffff, v1
	v_mul_lo_u16_e32 v1, s28, v1
	v_sub_u16_e32 v3, v0, v1
	s_and_b64 vcc, exec, s[8:9]
	s_cbranch_vccz .LBB22_55
; %bb.50:
	s_and_saveexec_b64 s[10:11], s[6:7]
	s_cbranch_execz .LBB22_54
; %bb.51:
	v_lshlrev_b32_e32 v4, 7, v6
	v_lshlrev_b32_e32 v5, 3, v3
	v_sub_u32_e32 v7, 0x1ff8, v4
	v_mov_b64_e32 v[0:1], 0
	s_mov_b32 s16, -1
	s_mov_b64 s[14:15], 0
.LBB22_52:                              ; =>This Inner Loop Header: Depth=1
	ds_read_b64 v[10:11], v5
	ds_read_b64 v[12:13], v7
	s_add_i32 s16, s16, 1
	v_cmp_ge_u32_e32 vcc, s16, v6
	v_add_u32_e32 v7, -8, v7
	v_add_u32_e32 v5, 0x80, v5
	s_or_b64 s[14:15], vcc, s[14:15]
	s_waitcnt lgkmcnt(0)
	v_fmac_f64_e32 v[0:1], v[10:11], v[12:13]
	s_andn2_b64 exec, exec, s[14:15]
	s_cbranch_execnz .LBB22_52
; %bb.53:
	s_or_b64 exec, exec, s[14:15]
	v_lshl_add_u32 v4, v3, 3, v4
	ds_write_b64 v4, v[0:1] offset:2048
.LBB22_54:
	s_or_b64 exec, exec, s[10:11]
	s_mov_b64 s[10:11], 0
.LBB22_55:
	s_andn2_b64 vcc, exec, s[10:11]
	s_cbranch_vccnz .LBB22_65
; %bb.56:
	s_and_saveexec_b64 s[10:11], s[6:7]
	s_cbranch_execz .LBB22_64
; %bb.57:
	v_cmp_lt_u16_e32 vcc, 15, v6
	v_lshlrev_b32_e32 v4, 7, v6
	s_and_saveexec_b64 s[14:15], vcc
	s_xor_b64 s[14:15], exec, s[14:15]
; %bb.58:
	v_lshlrev_b32_e32 v4, 7, v6
; %bb.59:
	s_or_saveexec_b64 s[14:15], s[14:15]
	v_mov_b64_e32 v[0:1], 0
	s_xor_b64 exec, exec, s[14:15]
	s_cbranch_execz .LBB22_63
; %bb.60:
	s_movk_i32 s16, 0x88
	v_mov_b32_e32 v0, 0x1000
	v_add_u32_e32 v5, -1, v6
	v_mad_u32_u24 v7, v6, s16, v0
	v_lshl_add_u32 v9, v3, 3, v4
	v_mov_b64_e32 v[0:1], 0
	s_mov_b64 s[16:17], 0
.LBB22_61:                              ; =>This Inner Loop Header: Depth=1
	ds_read_b64 v[10:11], v9
	ds_read_b64 v[12:13], v7
	v_add_u32_e32 v5, 1, v5
	v_cmp_lt_u32_e32 vcc, 14, v5
	v_add_u32_e32 v7, 8, v7
	v_add_u32_e32 v9, 0x80, v9
	s_or_b64 s[16:17], vcc, s[16:17]
	s_waitcnt lgkmcnt(0)
	v_fmac_f64_e32 v[0:1], v[10:11], v[12:13]
	s_andn2_b64 exec, exec, s[16:17]
	s_cbranch_execnz .LBB22_61
; %bb.62:
	s_or_b64 exec, exec, s[16:17]
.LBB22_63:
	s_or_b64 exec, exec, s[14:15]
	v_lshl_add_u32 v4, v3, 3, v4
	ds_write_b64 v4, v[0:1] offset:2048
.LBB22_64:
	s_or_b64 exec, exec, s[10:11]
.LBB22_65:
	s_load_dword s10, s[0:1], 0x48
	s_load_dwordx2 s[18:19], s[0:1], 0x58
	s_lshl_b64 s[14:15], s[20:21], 3
	s_waitcnt lgkmcnt(0)
	s_barrier
	s_ashr_i32 s11, s10, 31
	s_add_u32 s20, s12, s14
	s_addc_u32 s21, s13, s15
	s_lshl_b64 s[0:1], s[10:11], 5
	s_add_u32 s0, s0, 32
	s_addc_u32 s1, s1, 0
	s_mul_hi_u32 s16, s0, s31
	s_mul_i32 s1, s1, s31
	s_add_i32 s1, s16, s1
	s_mul_i32 s0, s0, s31
	s_lshl_b64 s[16:17], s[0:1], 3
	s_add_u32 s20, s20, s16
	s_mul_i32 s0, s19, s30
	s_mul_hi_u32 s1, s18, s30
	s_addc_u32 s21, s21, s17
	s_add_i32 s1, s1, s0
	s_mul_i32 s0, s18, s30
	s_lshl_b64 s[18:19], s[0:1], 3
	s_add_u32 s0, s20, s18
	s_addc_u32 s1, s21, s19
	s_mov_b64 s[20:21], -1
	s_and_b64 vcc, exec, s[8:9]
	s_cbranch_vccnz .LBB22_68
; %bb.66:
	s_andn2_b64 vcc, exec, s[20:21]
	s_cbranch_vccz .LBB22_73
.LBB22_67:
	s_and_saveexec_b64 s[6:7], s[2:3]
	s_cbranch_execnz .LBB22_78
	s_branch .LBB22_89
.LBB22_68:
	s_and_saveexec_b64 s[20:21], s[6:7]
	s_cbranch_execz .LBB22_72
; %bb.69:
	v_mul_u32_u24_e32 v0, s28, v6
	v_lshlrev_b32_e32 v4, 3, v0
	v_lshlrev_b32_e32 v0, 3, v3
	s_movk_i32 s22, 0x800
	v_add3_u32 v7, v4, v0, s22
	s_lshl_b32 s22, s28, 3
	v_sub_u32_e32 v4, s22, v0
	v_mul_i32_i24_e32 v4, s28, v4
	v_sub_u32_e32 v4, v4, v0
	v_add_u32_e32 v1, -1, v3
	v_add_u32_e32 v9, 0xff8, v4
	s_sub_i32 s24, 0, s22
	v_mov_b64_e32 v[4:5], 0
	s_mov_b64 s[22:23], 0
.LBB22_70:                              ; =>This Inner Loop Header: Depth=1
	ds_read_b64 v[10:11], v9
	ds_read_b64 v[12:13], v7
	v_add_u32_e32 v1, 1, v1
	v_cmp_lt_u32_e32 vcc, 14, v1
	v_add_u32_e32 v7, 8, v7
	v_add_u32_e32 v9, s24, v9
	s_or_b64 s[22:23], vcc, s[22:23]
	s_waitcnt lgkmcnt(0)
	v_fma_f64 v[4:5], -v[10:11], v[12:13], v[4:5]
	s_andn2_b64 exec, exec, s[22:23]
	s_cbranch_execnz .LBB22_70
; %bb.71:
	s_or_b64 exec, exec, s[22:23]
	s_mul_hi_i32 s23, s28, s10
	s_mul_i32 s22, s28, s10
	s_lshl_b64 s[22:23], s[22:23], 3
	s_add_u32 s22, s0, s22
	s_addc_u32 s23, s1, s23
	v_mov_b32_e32 v1, 0
	v_mad_i64_i32 v[10:11], s[24:25], v6, s10, 0
	v_lshl_add_u64 v[0:1], s[22:23], 0, v[0:1]
	v_lshl_add_u64 v[0:1], v[10:11], 3, v[0:1]
	flat_store_dwordx2 v[0:1], v[4:5]
.LBB22_72:
	s_or_b64 exec, exec, s[20:21]
	s_cbranch_execnz .LBB22_67
.LBB22_73:
	s_and_saveexec_b64 s[20:21], s[6:7]
	s_cbranch_execz .LBB22_77
; %bb.74:
	v_mov_b32_e32 v0, 0x1800
	v_lshl_add_u32 v4, v3, 3, v0
	v_mul_u32_u24_e32 v0, s28, v6
	v_mov_b32_e32 v1, 0x800
	v_lshl_add_u32 v5, v0, 3, v1
	s_lshl_b32 s22, s28, 3
	v_mov_b64_e32 v[0:1], 0
	s_mov_b32 s23, -1
	s_mov_b64 s[6:7], 0
.LBB22_75:                              ; =>This Inner Loop Header: Depth=1
	ds_read_b64 v[10:11], v4
	ds_read_b64 v[12:13], v5
	s_add_i32 s23, s23, 1
	v_cmp_ge_u32_e32 vcc, s23, v3
	v_add_u32_e32 v5, 8, v5
	v_add_u32_e32 v4, s22, v4
	s_or_b64 s[6:7], vcc, s[6:7]
	s_waitcnt lgkmcnt(0)
	v_fma_f64 v[0:1], -v[10:11], v[12:13], v[0:1]
	s_andn2_b64 exec, exec, s[6:7]
	s_cbranch_execnz .LBB22_75
; %bb.76:
	s_or_b64 exec, exec, s[6:7]
	v_mad_i64_i32 v[4:5], s[6:7], v6, s10, 0
	v_lshl_add_u64 v[4:5], v[4:5], 3, s[0:1]
	v_add_lshl_u32 v6, s28, v3, 3
	v_mov_b32_e32 v7, 0
	v_lshl_add_u64 v[4:5], v[4:5], 0, v[6:7]
	flat_store_dwordx2 v[4:5], v[0:1]
.LBB22_77:
	s_or_b64 exec, exec, s[20:21]
	s_and_saveexec_b64 s[6:7], s[2:3]
	s_cbranch_execz .LBB22_89
.LBB22_78:
	v_mov_b64_e32 v[0:1], 0
	s_and_saveexec_b64 s[2:3], s[4:5]
	s_cbranch_execnz .LBB22_81
; %bb.79:
	s_or_b64 exec, exec, s[2:3]
	s_mov_b64 s[2:3], -1
	s_and_b64 vcc, exec, s[8:9]
	s_cbranch_vccnz .LBB22_82
.LBB22_80:
	s_andn2_b64 vcc, exec, s[2:3]
	s_cbranch_vccz .LBB22_86
	s_branch .LBB22_89
.LBB22_81:
	s_add_u32 s4, s10, 1
	s_addc_u32 s5, s11, 0
	s_mul_i32 s5, s5, s28
	s_mul_hi_u32 s6, s4, s28
	s_add_i32 s5, s6, s5
	s_mul_i32 s4, s4, s28
	v_mov_b64_e32 v[0:1], s[4:5]
	s_or_b64 exec, exec, s[2:3]
	s_mov_b64 s[2:3], -1
	s_and_b64 vcc, exec, s[8:9]
	s_cbranch_vccz .LBB22_80
.LBB22_82:
	v_cmp_gt_i32_e32 vcc, s28, v2
	s_and_saveexec_b64 s[2:3], vcc
	s_cbranch_execz .LBB22_85
; %bb.83:
	s_cmp_lt_u32 s29, 16
	s_cselect_b32 s5, s29, 16
	s_cselect_b32 s4, 0, 0
	s_add_u32 s6, s5, -1
	s_addc_u32 s4, s4, -1
	s_mul_i32 s5, s6, s11
	s_mul_hi_u32 s7, s6, s10
	s_add_i32 s5, s7, s5
	s_mul_i32 s4, s4, s10
	s_add_i32 s5, s5, s4
	s_mul_i32 s4, s6, s10
	s_lshl_b64 s[4:5], s[4:5], 3
	s_add_u32 s4, s4, s18
	s_addc_u32 s5, s5, s19
	s_add_u32 s4, s4, s16
	s_addc_u32 s5, s5, s17
	s_add_u32 s4, s14, s4
	v_xad_u32 v3, v2, -1, s28
	s_addc_u32 s5, s15, s5
	v_lshl_add_u32 v6, v3, 3, v8
	v_ashrrev_i32_e32 v3, 31, v2
	v_lshl_add_u64 v[4:5], v[0:1], 3, s[4:5]
	s_lshl_b64 s[6:7], s[10:11], 3
	v_lshl_add_u64 v[4:5], v[2:3], 3, v[4:5]
	s_sub_u32 s6, 0, s6
	v_lshl_add_u64 v[4:5], s[12:13], 0, v[4:5]
	s_mov_b64 s[4:5], 0
	s_subb_u32 s7, 0, s7
	s_lshl_b32 s8, s28, 3
	s_mov_b32 s9, s28
.LBB22_84:                              ; =>This Inner Loop Header: Depth=1
	ds_read_b64 v[10:11], v6
	s_add_i32 s9, s9, -1
	v_cmp_le_i32_e32 vcc, s9, v2
	v_add_u32_e32 v6, s8, v6
	s_or_b64 s[4:5], vcc, s[4:5]
	s_waitcnt lgkmcnt(0)
	flat_store_dwordx2 v[4:5], v[10:11]
	v_lshl_add_u64 v[4:5], v[4:5], 0, s[6:7]
	s_andn2_b64 exec, exec, s[4:5]
	s_cbranch_execnz .LBB22_84
.LBB22_85:
	s_or_b64 exec, exec, s[2:3]
	s_cbranch_execnz .LBB22_89
.LBB22_86:
	v_cmp_lt_i32_e32 vcc, -1, v2
	s_and_b64 exec, exec, vcc
	s_cbranch_execz .LBB22_89
; %bb.87:
	v_mov_b32_e32 v3, 0
	v_lshl_add_u64 v[0:1], v[0:1], 3, s[0:1]
	v_lshl_add_u32 v4, v2, 3, v8
	v_lshl_add_u64 v[0:1], v[2:3], 3, v[0:1]
	v_add_u32_e32 v2, 1, v2
	s_lshl_b64 s[0:1], s[10:11], 3
	s_lshl_b32 s4, s28, 3
	s_mov_b64 s[2:3], 0
.LBB22_88:                              ; =>This Inner Loop Header: Depth=1
	ds_read_b64 v[6:7], v4
	v_add_u32_e32 v2, -1, v2
	v_cmp_eq_u32_e32 vcc, 0, v2
	v_add_u32_e32 v4, s4, v4
	s_or_b64 s[2:3], vcc, s[2:3]
	s_waitcnt lgkmcnt(0)
	flat_store_dwordx2 v[0:1], v[6:7]
	v_lshl_add_u64 v[0:1], v[0:1], 0, s[0:1]
	s_andn2_b64 exec, exec, s[2:3]
	s_cbranch_execnz .LBB22_88
.LBB22_89:
	s_endpgm
	.section	.rodata,"a",@progbits
	.p2align	6, 0x0
	.amdhsa_kernel _ZL29rocblas_trtri_diagonal_kernelILi16EdPKPKdPKPdEv13rocblas_fill_17rocblas_diagonal_iT1_lillT2_lilli
		.amdhsa_group_segment_fixed_size 8192
		.amdhsa_private_segment_fixed_size 0
		.amdhsa_kernarg_size 100
		.amdhsa_user_sgpr_count 2
		.amdhsa_user_sgpr_dispatch_ptr 0
		.amdhsa_user_sgpr_queue_ptr 0
		.amdhsa_user_sgpr_kernarg_segment_ptr 1
		.amdhsa_user_sgpr_dispatch_id 0
		.amdhsa_user_sgpr_kernarg_preload_length 0
		.amdhsa_user_sgpr_kernarg_preload_offset 0
		.amdhsa_user_sgpr_private_segment_size 0
		.amdhsa_uses_dynamic_stack 0
		.amdhsa_enable_private_segment 0
		.amdhsa_system_sgpr_workgroup_id_x 1
		.amdhsa_system_sgpr_workgroup_id_y 0
		.amdhsa_system_sgpr_workgroup_id_z 1
		.amdhsa_system_sgpr_workgroup_info 0
		.amdhsa_system_vgpr_workitem_id 0
		.amdhsa_next_free_vgpr 16
		.amdhsa_next_free_sgpr 40
		.amdhsa_accum_offset 16
		.amdhsa_reserve_vcc 1
		.amdhsa_float_round_mode_32 0
		.amdhsa_float_round_mode_16_64 0
		.amdhsa_float_denorm_mode_32 3
		.amdhsa_float_denorm_mode_16_64 3
		.amdhsa_dx10_clamp 1
		.amdhsa_ieee_mode 1
		.amdhsa_fp16_overflow 0
		.amdhsa_tg_split 0
		.amdhsa_exception_fp_ieee_invalid_op 0
		.amdhsa_exception_fp_denorm_src 0
		.amdhsa_exception_fp_ieee_div_zero 0
		.amdhsa_exception_fp_ieee_overflow 0
		.amdhsa_exception_fp_ieee_underflow 0
		.amdhsa_exception_fp_ieee_inexact 0
		.amdhsa_exception_int_div_zero 0
	.end_amdhsa_kernel
	.section	.text._ZL29rocblas_trtri_diagonal_kernelILi16EdPKPKdPKPdEv13rocblas_fill_17rocblas_diagonal_iT1_lillT2_lilli,"axG",@progbits,_ZL29rocblas_trtri_diagonal_kernelILi16EdPKPKdPKPdEv13rocblas_fill_17rocblas_diagonal_iT1_lillT2_lilli,comdat
.Lfunc_end22:
	.size	_ZL29rocblas_trtri_diagonal_kernelILi16EdPKPKdPKPdEv13rocblas_fill_17rocblas_diagonal_iT1_lillT2_lilli, .Lfunc_end22-_ZL29rocblas_trtri_diagonal_kernelILi16EdPKPKdPKPdEv13rocblas_fill_17rocblas_diagonal_iT1_lillT2_lilli
                                        ; -- End function
	.set _ZL29rocblas_trtri_diagonal_kernelILi16EdPKPKdPKPdEv13rocblas_fill_17rocblas_diagonal_iT1_lillT2_lilli.num_vgpr, 16
	.set _ZL29rocblas_trtri_diagonal_kernelILi16EdPKPKdPKPdEv13rocblas_fill_17rocblas_diagonal_iT1_lillT2_lilli.num_agpr, 0
	.set _ZL29rocblas_trtri_diagonal_kernelILi16EdPKPKdPKPdEv13rocblas_fill_17rocblas_diagonal_iT1_lillT2_lilli.numbered_sgpr, 40
	.set _ZL29rocblas_trtri_diagonal_kernelILi16EdPKPKdPKPdEv13rocblas_fill_17rocblas_diagonal_iT1_lillT2_lilli.num_named_barrier, 0
	.set _ZL29rocblas_trtri_diagonal_kernelILi16EdPKPKdPKPdEv13rocblas_fill_17rocblas_diagonal_iT1_lillT2_lilli.private_seg_size, 0
	.set _ZL29rocblas_trtri_diagonal_kernelILi16EdPKPKdPKPdEv13rocblas_fill_17rocblas_diagonal_iT1_lillT2_lilli.uses_vcc, 1
	.set _ZL29rocblas_trtri_diagonal_kernelILi16EdPKPKdPKPdEv13rocblas_fill_17rocblas_diagonal_iT1_lillT2_lilli.uses_flat_scratch, 0
	.set _ZL29rocblas_trtri_diagonal_kernelILi16EdPKPKdPKPdEv13rocblas_fill_17rocblas_diagonal_iT1_lillT2_lilli.has_dyn_sized_stack, 0
	.set _ZL29rocblas_trtri_diagonal_kernelILi16EdPKPKdPKPdEv13rocblas_fill_17rocblas_diagonal_iT1_lillT2_lilli.has_recursion, 0
	.set _ZL29rocblas_trtri_diagonal_kernelILi16EdPKPKdPKPdEv13rocblas_fill_17rocblas_diagonal_iT1_lillT2_lilli.has_indirect_call, 0
	.section	.AMDGPU.csdata,"",@progbits
; Kernel info:
; codeLenInByte = 2984
; TotalNumSgprs: 46
; NumVgprs: 16
; NumAgprs: 0
; TotalNumVgprs: 16
; ScratchSize: 0
; MemoryBound: 0
; FloatMode: 240
; IeeeMode: 1
; LDSByteSize: 8192 bytes/workgroup (compile time only)
; SGPRBlocks: 5
; VGPRBlocks: 1
; NumSGPRsForWavesPerEU: 46
; NumVGPRsForWavesPerEU: 16
; AccumOffset: 16
; Occupancy: 8
; WaveLimiterHint : 1
; COMPUTE_PGM_RSRC2:SCRATCH_EN: 0
; COMPUTE_PGM_RSRC2:USER_SGPR: 2
; COMPUTE_PGM_RSRC2:TRAP_HANDLER: 0
; COMPUTE_PGM_RSRC2:TGID_X_EN: 1
; COMPUTE_PGM_RSRC2:TGID_Y_EN: 0
; COMPUTE_PGM_RSRC2:TGID_Z_EN: 1
; COMPUTE_PGM_RSRC2:TIDIG_COMP_CNT: 0
; COMPUTE_PGM_RSRC3_GFX90A:ACCUM_OFFSET: 3
; COMPUTE_PGM_RSRC3_GFX90A:TG_SPLIT: 0
	.section	.text._ZL30rocblas_trtri_remainder_kernelILi16EdPKPKdPKPdEv13rocblas_fill_17rocblas_diagonal_iT1_lillT2_lilli,"axG",@progbits,_ZL30rocblas_trtri_remainder_kernelILi16EdPKPKdPKPdEv13rocblas_fill_17rocblas_diagonal_iT1_lillT2_lilli,comdat
	.globl	_ZL30rocblas_trtri_remainder_kernelILi16EdPKPKdPKPdEv13rocblas_fill_17rocblas_diagonal_iT1_lillT2_lilli ; -- Begin function _ZL30rocblas_trtri_remainder_kernelILi16EdPKPKdPKPdEv13rocblas_fill_17rocblas_diagonal_iT1_lillT2_lilli
	.p2align	8
	.type	_ZL30rocblas_trtri_remainder_kernelILi16EdPKPKdPKPdEv13rocblas_fill_17rocblas_diagonal_iT1_lillT2_lilli,@function
_ZL30rocblas_trtri_remainder_kernelILi16EdPKPKdPKPdEv13rocblas_fill_17rocblas_diagonal_iT1_lillT2_lilli: ; @_ZL30rocblas_trtri_remainder_kernelILi16EdPKPKdPKPdEv13rocblas_fill_17rocblas_diagonal_iT1_lillT2_lilli
; %bb.0:
	s_load_dwordx4 s[8:11], s[0:1], 0x0
	s_waitcnt lgkmcnt(0)
	s_cmp_lt_i32 s10, 1
	s_cbranch_scc1 .LBB23_36
; %bb.1:
	s_load_dwordx4 s[16:19], s[0:1], 0x30
	s_load_dwordx2 s[20:21], s[0:1], 0x40
	s_mov_b32 s4, s3
	s_mov_b32 s5, 0
	s_lshl_b64 s[26:27], s[4:5], 3
	s_waitcnt lgkmcnt(0)
	s_add_u32 s4, s18, s26
	s_addc_u32 s5, s19, s27
	s_load_dwordx2 s[18:19], s[4:5], 0x0
	v_cmp_le_u32_e64 s[4:5], s10, v0
	v_cmp_gt_u32_e64 s[6:7], s10, v0
	s_and_saveexec_b64 s[22:23], s[6:7]
	s_cbranch_execz .LBB23_9
; %bb.2:
	s_load_dwordx4 s[12:15], s[0:1], 0x10
	s_load_dword s24, s[0:1], 0x20
	s_mul_i32 s3, s17, s2
	s_mul_hi_u32 s11, s16, s2
	s_mul_i32 s16, s16, s2
	s_waitcnt lgkmcnt(0)
	s_add_u32 s12, s12, s26
	s_addc_u32 s13, s13, s27
	s_load_dwordx2 s[12:13], s[12:13], 0x0
	s_add_i32 s17, s11, s3
	s_cmpk_lg_i32 s8, 0x7a
	s_mov_b64 s[26:27], -1
	s_cbranch_scc0 .LBB23_6
; %bb.3:
	s_add_i32 s11, s10, -1
	s_ashr_i32 s25, s24, 31
	s_mul_i32 s28, s25, s11
	s_mul_hi_u32 s29, s24, s11
	s_add_i32 s29, s29, s28
	s_mul_i32 s28, s24, s11
	s_lshl_b32 s3, s10, 3
	s_lshl_b64 s[26:27], s[16:17], 3
	s_lshl_b64 s[28:29], s[28:29], 3
	v_sub_u32_e32 v1, s11, v0
	s_add_u32 s11, s26, s28
	s_addc_u32 s28, s27, s29
	s_lshl_b64 s[26:27], s[14:15], 3
	s_add_u32 s11, s11, s26
	s_addc_u32 s27, s28, s27
	s_waitcnt lgkmcnt(0)
	s_add_u32 s26, s12, s11
	s_addc_u32 s27, s13, s27
	s_lshl_b64 s[28:29], s[24:25], 3
	v_lshlrev_b32_e32 v2, 3, v0
	v_mov_b32_e32 v3, 0
	s_sub_u32 s28, 0, s28
	v_lshlrev_b32_e32 v1, 3, v1
	v_lshl_add_u64 v[2:3], s[26:27], 0, v[2:3]
	s_mov_b64 s[26:27], 0
	s_subb_u32 s29, 0, s29
	s_mov_b32 s11, s10
.LBB23_4:                               ; =>This Inner Loop Header: Depth=1
	flat_load_dwordx2 v[4:5], v[2:3]
	s_add_i32 s11, s11, -1
	v_cmp_le_u32_e32 vcc, s11, v0
	v_lshl_add_u64 v[2:3], v[2:3], 0, s[28:29]
	s_or_b64 s[26:27], vcc, s[26:27]
	s_waitcnt vmcnt(0) lgkmcnt(0)
	ds_write_b64 v1, v[4:5]
	v_add_u32_e32 v1, s3, v1
	s_andn2_b64 exec, exec, s[26:27]
	s_cbranch_execnz .LBB23_4
; %bb.5:
	s_or_b64 exec, exec, s[26:27]
	s_mov_b64 s[26:27], 0
.LBB23_6:
	s_and_b64 vcc, exec, s[26:27]
	s_cbranch_vccz .LBB23_9
; %bb.7:
	s_lshl_b64 s[14:15], s[14:15], 3
	s_waitcnt lgkmcnt(0)
	s_add_u32 s3, s12, s14
	s_addc_u32 s11, s13, s15
	s_lshl_b64 s[12:13], s[16:17], 3
	s_add_u32 s12, s3, s12
	s_addc_u32 s13, s11, s13
	s_ashr_i32 s25, s24, 31
	v_lshlrev_b32_e32 v2, 3, v0
	v_mov_b32_e32 v3, 0
	v_lshl_add_u64 v[4:5], s[12:13], 0, v[2:3]
	v_add_u32_e32 v1, 1, v0
	s_lshl_b32 s3, s10, 3
	s_lshl_b64 s[12:13], s[24:25], 3
	s_mov_b64 s[14:15], 0
.LBB23_8:                               ; =>This Inner Loop Header: Depth=1
	flat_load_dwordx2 v[6:7], v[4:5]
	v_add_u32_e32 v1, -1, v1
	v_cmp_eq_u32_e32 vcc, 0, v1
	v_lshl_add_u64 v[4:5], v[4:5], 0, s[12:13]
	s_or_b64 s[14:15], vcc, s[14:15]
	s_waitcnt vmcnt(0) lgkmcnt(0)
	ds_write_b64 v2, v[6:7]
	v_add_u32_e32 v2, s3, v2
	s_andn2_b64 exec, exec, s[14:15]
	s_cbranch_execnz .LBB23_8
.LBB23_9:
	s_or_b64 exec, exec, s[22:23]
	s_waitcnt lgkmcnt(0)
	s_barrier
                                        ; implicit-def: $vgpr2
	s_and_saveexec_b64 s[12:13], s[4:5]
	s_xor_b64 s[4:5], exec, s[12:13]
; %bb.10:
	v_mad_u64_u32 v[2:3], s[12:13], v0, s10, v[0:1]
; %bb.11:
	s_andn2_saveexec_b64 s[4:5], s[4:5]
	s_cbranch_execz .LBB23_17
; %bb.12:
	v_mad_u64_u32 v[2:3], s[12:13], v0, s10, v[0:1]
	s_cmpk_eq_i32 s9, 0x84
	v_lshlrev_b32_e32 v1, 3, v2
	v_mov_b64_e32 v[6:7], 1.0
	s_cbranch_scc1 .LBB23_16
; %bb.13:
	ds_read_b64 v[4:5], v1
	v_mov_b64_e32 v[6:7], 1.0
	s_waitcnt lgkmcnt(0)
	v_cmp_neq_f64_e32 vcc, 0, v[4:5]
	s_and_saveexec_b64 s[12:13], vcc
	s_cbranch_execz .LBB23_15
; %bb.14:
	v_div_scale_f64 v[6:7], s[14:15], v[4:5], v[4:5], 1.0
	v_rcp_f64_e32 v[8:9], v[6:7]
	v_div_scale_f64 v[10:11], vcc, 1.0, v[4:5], 1.0
	v_fma_f64 v[12:13], -v[6:7], v[8:9], 1.0
	v_fmac_f64_e32 v[8:9], v[8:9], v[12:13]
	v_fma_f64 v[12:13], -v[6:7], v[8:9], 1.0
	v_fmac_f64_e32 v[8:9], v[8:9], v[12:13]
	v_mul_f64 v[12:13], v[10:11], v[8:9]
	v_fma_f64 v[6:7], -v[6:7], v[12:13], v[10:11]
	v_div_fmas_f64 v[6:7], v[6:7], v[8:9], v[12:13]
	v_div_fixup_f64 v[6:7], v[6:7], v[4:5], 1.0
.LBB23_15:
	s_or_b64 exec, exec, s[12:13]
.LBB23_16:
	ds_write_b64 v1, v[6:7]
.LBB23_17:
	s_or_b64 exec, exec, s[4:5]
	v_lshlrev_b32_e32 v1, 3, v0
	s_lshl_b32 s9, s10, 3
	v_lshlrev_b32_e32 v4, 3, v2
	s_mov_b32 s3, 8
	s_add_i32 s11, s9, 8
	v_add_u32_e32 v5, s9, v1
	s_mov_b32 s12, 0
	s_waitcnt lgkmcnt(0)
	s_barrier
	s_branch .LBB23_19
.LBB23_18:                              ;   in Loop: Header=BB23_19 Depth=1
	s_add_i32 s3, s3, s11
	s_cmp_eq_u32 s12, s10
	v_add_u32_e32 v5, s9, v5
	s_barrier
	s_cbranch_scc1 .LBB23_28
.LBB23_19:                              ; =>This Loop Header: Depth=1
                                        ;     Child Loop BB23_24 Depth 2
	v_cmp_lt_u32_e32 vcc, s12, v0
	s_mul_i32 s13, s12, s10
	v_mov_b64_e32 v[2:3], 0
	s_and_saveexec_b64 s[4:5], vcc
	s_cbranch_execz .LBB23_21
; %bb.20:                               ;   in Loop: Header=BB23_19 Depth=1
	s_lshl_b32 s14, s12, 3
	s_lshl_b32 s15, s13, 3
	s_add_i32 s14, s14, s15
	v_add_u32_e32 v2, s15, v1
	v_mov_b32_e32 v6, s14
	ds_read_b64 v[2:3], v2
	ds_read_b64 v[6:7], v6
	s_waitcnt lgkmcnt(0)
	v_fma_f64 v[2:3], v[2:3], v[6:7], 0
.LBB23_21:                              ;   in Loop: Header=BB23_19 Depth=1
	s_or_b64 exec, exec, s[4:5]
	s_add_i32 s12, s12, 1
	s_cmp_ge_i32 s12, s10
	s_barrier
	s_cbranch_scc1 .LBB23_18
; %bb.22:                               ;   in Loop: Header=BB23_19 Depth=1
	v_lshl_add_u32 v6, s13, 3, v1
	v_mov_b32_e32 v7, v5
	s_mov_b32 s13, s3
	s_mov_b32 s14, s12
	s_branch .LBB23_24
.LBB23_23:                              ;   in Loop: Header=BB23_24 Depth=2
	s_or_b64 exec, exec, s[4:5]
	s_add_i32 s14, s14, 1
	s_add_i32 s13, s13, 8
	s_cmp_eq_u32 s10, s14
	v_add_u32_e32 v7, s9, v7
	s_barrier
	s_cbranch_scc1 .LBB23_18
.LBB23_24:                              ;   Parent Loop BB23_19 Depth=1
                                        ; =>  This Inner Loop Header: Depth=2
	v_cmp_eq_u32_e32 vcc, s14, v0
	s_and_saveexec_b64 s[4:5], vcc
	s_cbranch_execz .LBB23_26
; %bb.25:                               ;   in Loop: Header=BB23_24 Depth=2
	ds_read_b64 v[8:9], v4
	v_add_f64 v[10:11], -v[2:3], 0
	s_waitcnt lgkmcnt(0)
	v_mul_f64 v[8:9], v[10:11], v[8:9]
	ds_write_b64 v6, v[8:9]
.LBB23_26:                              ;   in Loop: Header=BB23_24 Depth=2
	s_or_b64 exec, exec, s[4:5]
	v_cmp_lt_u32_e32 vcc, s14, v0
	s_waitcnt lgkmcnt(0)
	s_barrier
	s_and_saveexec_b64 s[4:5], vcc
	s_cbranch_execz .LBB23_23
; %bb.27:                               ;   in Loop: Header=BB23_24 Depth=2
	v_mov_b32_e32 v10, s13
	ds_read_b64 v[8:9], v7
	ds_read_b64 v[10:11], v10
	s_waitcnt lgkmcnt(0)
	v_fmac_f64_e32 v[2:3], v[8:9], v[10:11]
	s_branch .LBB23_23
.LBB23_28:
	s_and_saveexec_b64 s[4:5], s[6:7]
	s_cbranch_execz .LBB23_36
; %bb.29:
	s_load_dwordx2 s[6:7], s[0:1], 0x58
	s_load_dword s4, s[0:1], 0x48
	s_waitcnt lgkmcnt(0)
	s_mul_i32 s0, s7, s2
	s_mul_hi_u32 s1, s6, s2
	s_add_i32 s1, s1, s0
	s_mul_i32 s0, s6, s2
	s_cmpk_lg_i32 s8, 0x7a
	s_mov_b64 s[2:3], -1
	s_cbranch_scc0 .LBB23_33
; %bb.30:
	s_add_i32 s6, s10, -1
	s_ashr_i32 s5, s4, 31
	s_mul_i32 s7, s5, s6
	s_mul_hi_u32 s8, s4, s6
	v_sub_u32_e32 v2, s6, v0
	s_add_i32 s7, s8, s7
	s_mul_i32 s6, s4, s6
	s_lshl_b64 s[2:3], s[0:1], 3
	s_lshl_b64 s[6:7], s[6:7], 3
	s_add_u32 s6, s2, s6
	s_addc_u32 s7, s3, s7
	s_lshl_b64 s[2:3], s[20:21], 3
	s_add_u32 s2, s6, s2
	s_addc_u32 s3, s7, s3
	s_add_u32 s2, s18, s2
	s_addc_u32 s3, s19, s3
	s_lshl_b64 s[6:7], s[4:5], 3
	v_lshlrev_b32_e32 v4, 3, v2
	v_lshlrev_b32_e32 v2, 3, v0
	v_mov_b32_e32 v3, 0
	s_sub_u32 s6, 0, s6
	v_lshl_add_u64 v[2:3], s[2:3], 0, v[2:3]
	s_mov_b64 s[2:3], 0
	s_subb_u32 s7, 0, s7
.LBB23_31:                              ; =>This Inner Loop Header: Depth=1
	ds_read_b64 v[6:7], v4
	s_add_i32 s10, s10, -1
	v_cmp_le_u32_e32 vcc, s10, v0
	v_add_u32_e32 v4, s9, v4
	s_or_b64 s[2:3], vcc, s[2:3]
	s_waitcnt lgkmcnt(0)
	flat_store_dwordx2 v[2:3], v[6:7]
	v_lshl_add_u64 v[2:3], v[2:3], 0, s[6:7]
	s_andn2_b64 exec, exec, s[2:3]
	s_cbranch_execnz .LBB23_31
; %bb.32:
	s_or_b64 exec, exec, s[2:3]
	s_mov_b64 s[2:3], 0
.LBB23_33:
	s_and_b64 vcc, exec, s[2:3]
	s_cbranch_vccz .LBB23_36
; %bb.34:
	s_lshl_b64 s[2:3], s[20:21], 3
	s_add_u32 s2, s18, s2
	s_addc_u32 s3, s19, s3
	s_lshl_b64 s[0:1], s[0:1], 3
	s_add_u32 s0, s2, s0
	s_addc_u32 s1, s3, s1
	s_ashr_i32 s5, s4, 31
	v_lshlrev_b32_e32 v2, 3, v0
	v_mov_b32_e32 v3, 0
	v_lshl_add_u64 v[2:3], s[0:1], 0, v[2:3]
	v_add_u32_e32 v0, 1, v0
	s_lshl_b64 s[0:1], s[4:5], 3
	s_mov_b64 s[2:3], 0
.LBB23_35:                              ; =>This Inner Loop Header: Depth=1
	ds_read_b64 v[4:5], v1
	v_add_u32_e32 v0, -1, v0
	v_cmp_eq_u32_e32 vcc, 0, v0
	v_add_u32_e32 v1, s9, v1
	s_or_b64 s[2:3], vcc, s[2:3]
	s_waitcnt lgkmcnt(0)
	flat_store_dwordx2 v[2:3], v[4:5]
	v_lshl_add_u64 v[2:3], v[2:3], 0, s[0:1]
	s_andn2_b64 exec, exec, s[2:3]
	s_cbranch_execnz .LBB23_35
.LBB23_36:
	s_endpgm
	.section	.rodata,"a",@progbits
	.p2align	6, 0x0
	.amdhsa_kernel _ZL30rocblas_trtri_remainder_kernelILi16EdPKPKdPKPdEv13rocblas_fill_17rocblas_diagonal_iT1_lillT2_lilli
		.amdhsa_group_segment_fixed_size 8192
		.amdhsa_private_segment_fixed_size 0
		.amdhsa_kernarg_size 100
		.amdhsa_user_sgpr_count 2
		.amdhsa_user_sgpr_dispatch_ptr 0
		.amdhsa_user_sgpr_queue_ptr 0
		.amdhsa_user_sgpr_kernarg_segment_ptr 1
		.amdhsa_user_sgpr_dispatch_id 0
		.amdhsa_user_sgpr_kernarg_preload_length 0
		.amdhsa_user_sgpr_kernarg_preload_offset 0
		.amdhsa_user_sgpr_private_segment_size 0
		.amdhsa_uses_dynamic_stack 0
		.amdhsa_enable_private_segment 0
		.amdhsa_system_sgpr_workgroup_id_x 1
		.amdhsa_system_sgpr_workgroup_id_y 0
		.amdhsa_system_sgpr_workgroup_id_z 1
		.amdhsa_system_sgpr_workgroup_info 0
		.amdhsa_system_vgpr_workitem_id 0
		.amdhsa_next_free_vgpr 14
		.amdhsa_next_free_sgpr 30
		.amdhsa_accum_offset 16
		.amdhsa_reserve_vcc 1
		.amdhsa_float_round_mode_32 0
		.amdhsa_float_round_mode_16_64 0
		.amdhsa_float_denorm_mode_32 3
		.amdhsa_float_denorm_mode_16_64 3
		.amdhsa_dx10_clamp 1
		.amdhsa_ieee_mode 1
		.amdhsa_fp16_overflow 0
		.amdhsa_tg_split 0
		.amdhsa_exception_fp_ieee_invalid_op 0
		.amdhsa_exception_fp_denorm_src 0
		.amdhsa_exception_fp_ieee_div_zero 0
		.amdhsa_exception_fp_ieee_overflow 0
		.amdhsa_exception_fp_ieee_underflow 0
		.amdhsa_exception_fp_ieee_inexact 0
		.amdhsa_exception_int_div_zero 0
	.end_amdhsa_kernel
	.section	.text._ZL30rocblas_trtri_remainder_kernelILi16EdPKPKdPKPdEv13rocblas_fill_17rocblas_diagonal_iT1_lillT2_lilli,"axG",@progbits,_ZL30rocblas_trtri_remainder_kernelILi16EdPKPKdPKPdEv13rocblas_fill_17rocblas_diagonal_iT1_lillT2_lilli,comdat
.Lfunc_end23:
	.size	_ZL30rocblas_trtri_remainder_kernelILi16EdPKPKdPKPdEv13rocblas_fill_17rocblas_diagonal_iT1_lillT2_lilli, .Lfunc_end23-_ZL30rocblas_trtri_remainder_kernelILi16EdPKPKdPKPdEv13rocblas_fill_17rocblas_diagonal_iT1_lillT2_lilli
                                        ; -- End function
	.set _ZL30rocblas_trtri_remainder_kernelILi16EdPKPKdPKPdEv13rocblas_fill_17rocblas_diagonal_iT1_lillT2_lilli.num_vgpr, 14
	.set _ZL30rocblas_trtri_remainder_kernelILi16EdPKPKdPKPdEv13rocblas_fill_17rocblas_diagonal_iT1_lillT2_lilli.num_agpr, 0
	.set _ZL30rocblas_trtri_remainder_kernelILi16EdPKPKdPKPdEv13rocblas_fill_17rocblas_diagonal_iT1_lillT2_lilli.numbered_sgpr, 30
	.set _ZL30rocblas_trtri_remainder_kernelILi16EdPKPKdPKPdEv13rocblas_fill_17rocblas_diagonal_iT1_lillT2_lilli.num_named_barrier, 0
	.set _ZL30rocblas_trtri_remainder_kernelILi16EdPKPKdPKPdEv13rocblas_fill_17rocblas_diagonal_iT1_lillT2_lilli.private_seg_size, 0
	.set _ZL30rocblas_trtri_remainder_kernelILi16EdPKPKdPKPdEv13rocblas_fill_17rocblas_diagonal_iT1_lillT2_lilli.uses_vcc, 1
	.set _ZL30rocblas_trtri_remainder_kernelILi16EdPKPKdPKPdEv13rocblas_fill_17rocblas_diagonal_iT1_lillT2_lilli.uses_flat_scratch, 0
	.set _ZL30rocblas_trtri_remainder_kernelILi16EdPKPKdPKPdEv13rocblas_fill_17rocblas_diagonal_iT1_lillT2_lilli.has_dyn_sized_stack, 0
	.set _ZL30rocblas_trtri_remainder_kernelILi16EdPKPKdPKPdEv13rocblas_fill_17rocblas_diagonal_iT1_lillT2_lilli.has_recursion, 0
	.set _ZL30rocblas_trtri_remainder_kernelILi16EdPKPKdPKPdEv13rocblas_fill_17rocblas_diagonal_iT1_lillT2_lilli.has_indirect_call, 0
	.section	.AMDGPU.csdata,"",@progbits
; Kernel info:
; codeLenInByte = 1272
; TotalNumSgprs: 36
; NumVgprs: 14
; NumAgprs: 0
; TotalNumVgprs: 14
; ScratchSize: 0
; MemoryBound: 0
; FloatMode: 240
; IeeeMode: 1
; LDSByteSize: 8192 bytes/workgroup (compile time only)
; SGPRBlocks: 4
; VGPRBlocks: 1
; NumSGPRsForWavesPerEU: 36
; NumVGPRsForWavesPerEU: 14
; AccumOffset: 16
; Occupancy: 8
; WaveLimiterHint : 0
; COMPUTE_PGM_RSRC2:SCRATCH_EN: 0
; COMPUTE_PGM_RSRC2:USER_SGPR: 2
; COMPUTE_PGM_RSRC2:TRAP_HANDLER: 0
; COMPUTE_PGM_RSRC2:TGID_X_EN: 1
; COMPUTE_PGM_RSRC2:TGID_Y_EN: 0
; COMPUTE_PGM_RSRC2:TGID_Z_EN: 1
; COMPUTE_PGM_RSRC2:TIDIG_COMP_CNT: 0
; COMPUTE_PGM_RSRC3_GFX90A:ACCUM_OFFSET: 3
; COMPUTE_PGM_RSRC3_GFX90A:TG_SPLIT: 0
	.section	.text._ZL18rocblas_trtri_fillILi128E19rocblas_complex_numIfEPKPS1_EvP15_rocblas_handle13rocblas_fill_ililT1_llii,"axG",@progbits,_ZL18rocblas_trtri_fillILi128E19rocblas_complex_numIfEPKPS1_EvP15_rocblas_handle13rocblas_fill_ililT1_llii,comdat
	.globl	_ZL18rocblas_trtri_fillILi128E19rocblas_complex_numIfEPKPS1_EvP15_rocblas_handle13rocblas_fill_ililT1_llii ; -- Begin function _ZL18rocblas_trtri_fillILi128E19rocblas_complex_numIfEPKPS1_EvP15_rocblas_handle13rocblas_fill_ililT1_llii
	.p2align	8
	.type	_ZL18rocblas_trtri_fillILi128E19rocblas_complex_numIfEPKPS1_EvP15_rocblas_handle13rocblas_fill_ililT1_llii,@function
_ZL18rocblas_trtri_fillILi128E19rocblas_complex_numIfEPKPS1_EvP15_rocblas_handle13rocblas_fill_ililT1_llii: ; @_ZL18rocblas_trtri_fillILi128E19rocblas_complex_numIfEPKPS1_EvP15_rocblas_handle13rocblas_fill_ililT1_llii
; %bb.0:
	s_mov_b32 s12, s3
	s_load_dword s3, s[0:1], 0x40
	s_load_dwordx2 s[8:9], s[0:1], 0x10
	s_waitcnt lgkmcnt(0)
	s_ashr_i32 s4, s3, 31
	s_mul_hi_u32 s5, s8, s3
	s_mul_i32 s4, s8, s4
	s_add_i32 s4, s5, s4
	s_mul_i32 s5, s9, s3
	s_mul_i32 s10, s8, s3
	s_mov_b32 s3, 0
	s_add_i32 s11, s4, s5
	s_lshl_b64 s[4:5], s[2:3], 7
	v_or_b32_e32 v0, s4, v0
	v_mov_b32_e32 v1, s5
	v_cmp_gt_u64_e32 vcc, s[10:11], v[0:1]
	s_and_saveexec_b64 s[4:5], vcc
	s_cbranch_execz .LBB24_16
; %bb.1:
	s_load_dword s2, s[0:1], 0x18
	s_load_dwordx4 s[4:7], s[0:1], 0x20
	s_load_dwordx2 s[14:15], s[0:1], 0x30
	s_mov_b32 s13, s3
	s_lshl_b64 s[12:13], s[12:13], 3
	s_waitcnt lgkmcnt(0)
	s_ashr_i32 s3, s2, 31
	s_add_u32 s12, s6, s12
	v_cvt_f32_u32_e32 v4, s8
	v_cvt_f32_u32_e32 v5, s9
	s_addc_u32 s13, s7, s13
	s_load_dwordx2 s[16:17], s[12:13], 0x0
	s_load_dwordx2 s[6:7], s[0:1], 0x8
	s_lshl_b64 s[12:13], s[14:15], 3
	v_fmamk_f32 v4, v5, 0x4f800000, v4
	v_rcp_f32_e32 v5, v4
	v_cvt_f32_u32_e32 v6, s8
	s_waitcnt lgkmcnt(0)
	s_add_u32 s12, s16, s12
	s_addc_u32 s13, s17, s13
	s_add_i32 s14, s7, -2
	v_cvt_f64_i32_e32 v[2:3], s14
	s_add_i32 s14, s7, -1
	s_mul_hi_i32 s15, s14, s7
	s_mul_i32 s14, s14, s7
	v_mul_f32_e32 v5, 0x5f7ffffc, v5
	v_rcp_iflag_f32_e32 v6, v6
	s_ashr_i32 s24, s7, 31
	s_lshl_b64 s[16:17], s[14:15], 2
	v_mul_f32_e32 v7, 0x2f800000, v5
	s_mov_b32 s25, s7
	s_add_u32 s7, s16, -7
	s_load_dword s16, s[0:1], 0x48
	s_load_dword s18, s[0:1], 0x54
	v_trunc_f32_e32 v7, v7
	v_fmamk_f32 v5, v7, 0xcf800000, v5
	v_cvt_u32_f32_e32 v12, v5
	v_mul_f32_e32 v5, 0x4f7ffffe, v6
	v_cvt_u32_f32_e32 v13, v7
	v_cvt_u32_f32_e32 v14, v5
	s_addc_u32 s26, s17, -1
	s_waitcnt lgkmcnt(0)
	s_and_b32 s0, s18, 0xffff
	s_mov_b32 s20, 0
	s_lshr_b64 s[14:15], s[14:15], 1
	s_mul_hi_u32 s17, s0, s16
	s_mul_i32 s16, s0, s16
	s_mov_b64 s[18:19], 0
	v_mov_b32_e32 v4, 0
	s_brev_b32 s21, 8
	v_mov_b32_e32 v15, 0x260
	s_movk_i32 s27, 0xffe0
	v_mov_b32_e32 v16, 0x100
	v_mov_b32_e32 v17, 0xffffff80
	s_branch .LBB24_3
.LBB24_2:                               ;   in Loop: Header=BB24_3 Depth=1
	v_lshl_add_u64 v[0:1], v[0:1], 0, s[16:17]
	v_cmp_le_u64_e32 vcc, s[10:11], v[0:1]
	s_or_b64 s[18:19], vcc, s[18:19]
	s_andn2_b64 exec, exec, s[18:19]
	s_cbranch_execz .LBB24_16
.LBB24_3:                               ; =>This Inner Loop Header: Depth=1
	v_or_b32_e32 v5, s9, v1
	v_cmp_ne_u64_e32 vcc, 0, v[4:5]
                                        ; implicit-def: $vgpr6_vgpr7
	s_and_saveexec_b64 s[0:1], vcc
	s_xor_b64 s[22:23], exec, s[0:1]
	s_cbranch_execz .LBB24_5
; %bb.4:                                ;   in Loop: Header=BB24_3 Depth=1
	s_sub_u32 s28, 0, s8
	v_readfirstlane_b32 s0, v12
	v_readfirstlane_b32 s31, v13
	s_subb_u32 s29, 0, s9
	s_mul_hi_u32 s30, s28, s0
	s_mul_i32 s33, s28, s31
	s_mul_i32 s1, s29, s0
	s_add_i32 s30, s30, s33
	s_add_i32 s30, s30, s1
	s_mul_i32 s34, s28, s0
	s_mul_i32 s33, s0, s30
	s_mul_hi_u32 s35, s0, s34
	s_mul_hi_u32 s1, s0, s30
	s_add_u32 s33, s35, s33
	s_addc_u32 s1, 0, s1
	s_mul_hi_u32 s36, s31, s34
	s_mul_i32 s34, s31, s34
	s_add_u32 s33, s33, s34
	s_mul_hi_u32 s35, s31, s30
	s_addc_u32 s1, s1, s36
	s_addc_u32 s33, s35, 0
	s_mul_i32 s30, s31, s30
	s_add_u32 s1, s1, s30
	s_addc_u32 s30, 0, s33
	s_add_u32 s33, s0, s1
	s_cselect_b64 s[0:1], -1, 0
	s_cmp_lg_u64 s[0:1], 0
	s_addc_u32 s30, s31, s30
	s_mul_i32 s0, s28, s30
	s_mul_hi_u32 s1, s28, s33
	s_add_i32 s0, s1, s0
	s_mul_i32 s29, s29, s33
	s_add_i32 s0, s0, s29
	s_mul_i32 s28, s28, s33
	s_mul_hi_u32 s29, s30, s28
	s_mul_i32 s31, s30, s28
	s_mul_i32 s35, s33, s0
	s_mul_hi_u32 s28, s33, s28
	s_mul_hi_u32 s34, s33, s0
	s_add_u32 s28, s28, s35
	s_addc_u32 s34, 0, s34
	s_add_u32 s28, s28, s31
	s_mul_hi_u32 s1, s30, s0
	s_addc_u32 s28, s34, s29
	s_addc_u32 s1, s1, 0
	s_mul_i32 s0, s30, s0
	s_add_u32 s0, s28, s0
	s_addc_u32 s28, 0, s1
	s_add_u32 s29, s33, s0
	s_cselect_b64 s[0:1], -1, 0
	s_cmp_lg_u64 s[0:1], 0
	s_addc_u32 s28, s30, s28
	v_mad_u64_u32 v[6:7], s[0:1], v0, s28, 0
	v_mul_hi_u32 v8, v0, s29
	v_mov_b32_e32 v9, v4
	v_lshl_add_u64 v[6:7], v[8:9], 0, v[6:7]
	v_mad_u64_u32 v[10:11], s[0:1], v1, s29, 0
	v_add_co_u32_e32 v5, vcc, v6, v10
	v_mad_u64_u32 v[8:9], s[0:1], v1, s28, 0
	s_nop 0
	v_addc_co_u32_e32 v6, vcc, v7, v11, vcc
	v_mov_b32_e32 v7, v4
	s_nop 0
	v_addc_co_u32_e32 v9, vcc, 0, v9, vcc
	v_lshl_add_u64 v[6:7], v[6:7], 0, v[8:9]
	v_mul_lo_u32 v5, s9, v6
	v_mul_lo_u32 v10, s8, v7
	v_mad_u64_u32 v[8:9], s[0:1], s8, v6, 0
	v_add3_u32 v5, v9, v10, v5
	v_sub_u32_e32 v9, v1, v5
	v_mov_b32_e32 v10, s9
	v_sub_co_u32_e32 v18, vcc, v0, v8
	s_nop 1
	v_subb_co_u32_e64 v8, s[0:1], v9, v10, vcc
	v_subrev_co_u32_e64 v9, s[0:1], s8, v18
	v_subb_co_u32_e32 v5, vcc, v1, v5, vcc
	s_nop 0
	v_subbrev_co_u32_e64 v8, s[0:1], 0, v8, s[0:1]
	v_cmp_le_u32_e64 s[0:1], s9, v8
	v_cmp_le_u32_e32 vcc, s9, v5
	s_nop 0
	v_cndmask_b32_e64 v10, 0, -1, s[0:1]
	v_cmp_le_u32_e64 s[0:1], s8, v9
	s_nop 1
	v_cndmask_b32_e64 v9, 0, -1, s[0:1]
	v_cmp_eq_u32_e64 s[0:1], s9, v8
	s_nop 1
	v_cndmask_b32_e64 v19, v10, v9, s[0:1]
	v_lshl_add_u64 v[8:9], v[6:7], 0, 2
	v_lshl_add_u64 v[10:11], v[6:7], 0, 1
	v_cmp_ne_u32_e64 s[0:1], 0, v19
	s_nop 1
	v_cndmask_b32_e64 v9, v11, v9, s[0:1]
	v_cndmask_b32_e64 v11, 0, -1, vcc
	v_cmp_le_u32_e32 vcc, s8, v18
	s_nop 1
	v_cndmask_b32_e64 v18, 0, -1, vcc
	v_cmp_eq_u32_e32 vcc, s9, v5
	s_nop 1
	v_cndmask_b32_e32 v5, v11, v18, vcc
	v_cmp_ne_u32_e32 vcc, 0, v5
	v_cndmask_b32_e64 v5, v10, v8, s[0:1]
	s_nop 0
	v_cndmask_b32_e32 v7, v7, v9, vcc
	v_cndmask_b32_e32 v6, v6, v5, vcc
.LBB24_5:                               ;   in Loop: Header=BB24_3 Depth=1
	s_andn2_saveexec_b64 s[0:1], s[22:23]
	s_cbranch_execz .LBB24_7
; %bb.6:                                ;   in Loop: Header=BB24_3 Depth=1
	s_sub_i32 s22, 0, s8
	v_mul_lo_u32 v5, s22, v14
	v_mul_hi_u32 v5, v14, v5
	v_add_u32_e32 v5, v14, v5
	v_mul_hi_u32 v5, v0, v5
	v_mul_lo_u32 v6, v5, s8
	v_sub_u32_e32 v6, v0, v6
	v_subrev_u32_e32 v7, s8, v6
	v_cmp_le_u32_e32 vcc, s8, v6
	s_nop 1
	v_cndmask_b32_e32 v6, v6, v7, vcc
	v_add_u32_e32 v7, 1, v5
	v_cndmask_b32_e32 v5, v5, v7, vcc
	v_add_u32_e32 v7, 1, v5
	v_cmp_le_u32_e32 vcc, s8, v6
	s_nop 1
	v_cndmask_b32_e32 v6, v5, v7, vcc
	v_mov_b32_e32 v7, v4
.LBB24_7:                               ;   in Loop: Header=BB24_3 Depth=1
	s_or_b64 exec, exec, s[0:1]
	v_mul_lo_u32 v5, v7, s8
	v_mul_lo_u32 v10, v6, s9
	v_mad_u64_u32 v[8:9], s[0:1], v6, s8, 0
	v_add3_u32 v5, v9, v10, v5
	v_sub_co_u32_e32 v8, vcc, v0, v8
	s_cmpk_lt_i32 s6, 0x7a
	s_nop 0
	v_subb_co_u32_e32 v9, vcc, v1, v5, vcc
	s_cbranch_scc1 .LBB24_10
; %bb.8:                                ;   in Loop: Header=BB24_3 Depth=1
	s_mov_b64 s[0:1], 0
	s_cmpk_eq_i32 s6, 0x7a
	s_mov_b64 s[22:23], 0
                                        ; implicit-def: $vgpr10_vgpr11
	s_cbranch_scc0 .LBB24_11
; %bb.9:                                ;   in Loop: Header=BB24_3 Depth=1
	v_lshlrev_b64 v[10:11], 3, v[8:9]
	v_mov_b32_e32 v5, s26
	v_sub_co_u32_e32 v18, vcc, s7, v10
	v_cvt_f64_u32_e32 v[18:19], v18
	s_nop 0
	v_subb_co_u32_e32 v5, vcc, v5, v11, vcc
	v_cvt_f64_u32_e32 v[10:11], v5
	v_ldexp_f64 v[10:11], v[10:11], 32
	v_add_f64 v[10:11], v[10:11], v[18:19]
	v_cmp_gt_f64_e32 vcc, s[20:21], v[10:11]
	s_nop 1
	v_cndmask_b32_e32 v5, 0, v16, vcc
	v_ldexp_f64 v[10:11], v[10:11], v5
	v_rsq_f64_e32 v[18:19], v[10:11]
	v_cndmask_b32_e32 v5, 0, v17, vcc
	v_cmp_class_f64_e32 vcc, v[10:11], v15
	v_mul_f64 v[20:21], v[10:11], v[18:19]
	v_mul_f64 v[18:19], v[18:19], 0.5
	v_fma_f64 v[22:23], -v[18:19], v[20:21], 0.5
	v_fmac_f64_e32 v[20:21], v[20:21], v[22:23]
	v_fma_f64 v[24:25], -v[20:21], v[20:21], v[10:11]
	v_fmac_f64_e32 v[18:19], v[18:19], v[22:23]
	v_fmac_f64_e32 v[20:21], v[24:25], v[18:19]
	v_fma_f64 v[22:23], -v[20:21], v[20:21], v[10:11]
	v_fmac_f64_e32 v[20:21], v[22:23], v[18:19]
	v_ldexp_f64 v[18:19], v[20:21], v5
	v_cndmask_b32_e32 v11, v19, v11, vcc
	v_cndmask_b32_e32 v10, v18, v10, vcc
	v_fma_f64 v[10:11], v[10:11], 0.5, -0.5
	v_floor_f64_e32 v[10:11], v[10:11]
	v_add_f64 v[10:11], v[2:3], -v[10:11]
	v_trunc_f64_e32 v[10:11], v[10:11]
	v_ldexp_f64 v[18:19], v[10:11], s27
	v_floor_f64_e32 v[18:19], v[18:19]
	v_fmac_f64_e32 v[10:11], 0xc1f00000, v[18:19]
	v_cvt_u32_f64_e32 v10, v[10:11]
	v_cvt_u32_f64_e32 v11, v[18:19]
	v_mov_b32_e32 v5, s15
	v_subrev_co_u32_e32 v18, vcc, s14, v8
	v_mul_lo_u32 v24, v6, s5
	s_nop 0
	v_subb_co_u32_e32 v19, vcc, v9, v5, vcc
	v_mov_b32_e32 v5, s24
	v_sub_co_u32_e32 v20, vcc, s25, v10
	v_mul_lo_u32 v26, v11, s2
	s_nop 0
	v_subb_co_u32_e32 v21, vcc, v5, v11, vcc
	v_lshl_add_u64 v[22:23], v[20:21], 0, -1
	v_mul_lo_u32 v5, v23, v20
	v_mul_lo_u32 v23, v22, v21
	v_mad_u64_u32 v[20:21], s[22:23], v22, v20, 0
	v_add3_u32 v21, v21, v23, v5
	v_mul_lo_u32 v5, v7, s4
	v_mad_u64_u32 v[22:23], s[22:23], v6, s4, 0
	v_add3_u32 v23, v23, v24, v5
	;; [unrolled: 3-line block ×3, first 2 shown]
	v_lshl_add_u64 v[22:23], v[22:23], 3, s[12:13]
	v_lshl_add_u64 v[22:23], v[24:25], 3, v[22:23]
	;; [unrolled: 1-line block ×4, first 2 shown]
	v_lshlrev_b64 v[18:19], 2, v[20:21]
	v_and_b32_e32 v18, -8, v18
	v_lshl_add_u64 v[18:19], v[10:11], 0, v[18:19]
	v_lshl_add_u64 v[10:11], v[18:19], 0, 8
	flat_store_dword v[18:19], v4 offset:8
	s_mov_b64 s[22:23], -1
	s_branch .LBB24_11
.LBB24_10:                              ;   in Loop: Header=BB24_3 Depth=1
	s_mov_b64 s[0:1], -1
	s_mov_b64 s[22:23], 0
                                        ; implicit-def: $vgpr10_vgpr11
.LBB24_11:                              ;   in Loop: Header=BB24_3 Depth=1
	s_and_b64 vcc, exec, s[0:1]
	s_cbranch_vccz .LBB24_14
; %bb.12:                               ;   in Loop: Header=BB24_3 Depth=1
	s_cmpk_eq_i32 s6, 0x79
                                        ; implicit-def: $vgpr10_vgpr11
	s_cbranch_scc0 .LBB24_14
; %bb.13:                               ;   in Loop: Header=BB24_3 Depth=1
	v_lshlrev_b64 v[10:11], 3, v[8:9]
	v_or_b32_e32 v5, 1, v10
	v_cvt_f64_u32_e32 v[10:11], v11
	v_ldexp_f64 v[10:11], v[10:11], 32
	v_cvt_f64_u32_e32 v[18:19], v5
	v_add_f64 v[10:11], v[10:11], v[18:19]
	v_cmp_gt_f64_e32 vcc, s[20:21], v[10:11]
	s_mov_b64 s[22:23], -1
	s_nop 0
	v_cndmask_b32_e32 v5, 0, v16, vcc
	v_ldexp_f64 v[10:11], v[10:11], v5
	v_rsq_f64_e32 v[18:19], v[10:11]
	v_cndmask_b32_e32 v5, 0, v17, vcc
	v_cmp_class_f64_e32 vcc, v[10:11], v15
	v_mul_f64 v[20:21], v[10:11], v[18:19]
	v_mul_f64 v[18:19], v[18:19], 0.5
	v_fma_f64 v[22:23], -v[18:19], v[20:21], 0.5
	v_fmac_f64_e32 v[20:21], v[20:21], v[22:23]
	v_fma_f64 v[24:25], -v[20:21], v[20:21], v[10:11]
	v_fmac_f64_e32 v[18:19], v[18:19], v[22:23]
	v_fmac_f64_e32 v[20:21], v[24:25], v[18:19]
	v_fma_f64 v[22:23], -v[20:21], v[20:21], v[10:11]
	v_fmac_f64_e32 v[20:21], v[22:23], v[18:19]
	v_ldexp_f64 v[18:19], v[20:21], v5
	v_cndmask_b32_e32 v11, v19, v11, vcc
	v_cndmask_b32_e32 v10, v18, v10, vcc
	v_add_f64 v[10:11], v[10:11], -1.0
	v_mul_f64 v[10:11], v[10:11], 0.5
	v_trunc_f64_e32 v[10:11], v[10:11]
	v_ldexp_f64 v[18:19], v[10:11], s27
	v_floor_f64_e32 v[18:19], v[18:19]
	v_fmac_f64_e32 v[10:11], 0xc1f00000, v[18:19]
	v_cvt_u32_f64_e32 v10, v[10:11]
	v_cvt_u32_f64_e32 v11, v[18:19]
	v_mad_u64_u32 v[18:19], s[0:1], v10, v10, v[10:11]
	v_mul_lo_u32 v5, v10, v11
	v_add3_u32 v19, v5, v19, v5
	v_lshrrev_b64 v[18:19], 1, v[18:19]
	v_sub_co_u32_e32 v8, vcc, v8, v18
	v_mul_lo_u32 v5, v7, s4
	v_mul_lo_u32 v18, v6, s5
	v_mad_u64_u32 v[6:7], s[0:1], v6, s4, 0
	v_subb_co_u32_e32 v9, vcc, v9, v19, vcc
	v_add3_u32 v7, v7, v18, v5
	v_mov_b64_e32 v[18:19], s[2:3]
	v_mul_lo_u32 v5, s3, v10
	v_mad_u64_u32 v[18:19], s[0:1], s2, v10, v[18:19]
	v_mul_lo_u32 v10, s2, v11
	v_add3_u32 v19, v5, v19, v10
	v_lshl_add_u64 v[6:7], v[6:7], 3, s[12:13]
	v_lshl_add_u64 v[6:7], v[18:19], 3, v[6:7]
	v_lshl_add_u64 v[10:11], v[8:9], 3, v[6:7]
	flat_store_dword v[10:11], v4
.LBB24_14:                              ;   in Loop: Header=BB24_3 Depth=1
	s_and_b64 vcc, exec, s[22:23]
	s_cbranch_vccz .LBB24_2
; %bb.15:                               ;   in Loop: Header=BB24_3 Depth=1
	flat_store_dword v[10:11], v4 offset:4
	s_branch .LBB24_2
.LBB24_16:
	s_endpgm
	.section	.rodata,"a",@progbits
	.p2align	6, 0x0
	.amdhsa_kernel _ZL18rocblas_trtri_fillILi128E19rocblas_complex_numIfEPKPS1_EvP15_rocblas_handle13rocblas_fill_ililT1_llii
		.amdhsa_group_segment_fixed_size 0
		.amdhsa_private_segment_fixed_size 0
		.amdhsa_kernarg_size 328
		.amdhsa_user_sgpr_count 2
		.amdhsa_user_sgpr_dispatch_ptr 0
		.amdhsa_user_sgpr_queue_ptr 0
		.amdhsa_user_sgpr_kernarg_segment_ptr 1
		.amdhsa_user_sgpr_dispatch_id 0
		.amdhsa_user_sgpr_kernarg_preload_length 0
		.amdhsa_user_sgpr_kernarg_preload_offset 0
		.amdhsa_user_sgpr_private_segment_size 0
		.amdhsa_uses_dynamic_stack 0
		.amdhsa_enable_private_segment 0
		.amdhsa_system_sgpr_workgroup_id_x 1
		.amdhsa_system_sgpr_workgroup_id_y 0
		.amdhsa_system_sgpr_workgroup_id_z 1
		.amdhsa_system_sgpr_workgroup_info 0
		.amdhsa_system_vgpr_workitem_id 0
		.amdhsa_next_free_vgpr 27
		.amdhsa_next_free_sgpr 37
		.amdhsa_accum_offset 28
		.amdhsa_reserve_vcc 1
		.amdhsa_float_round_mode_32 0
		.amdhsa_float_round_mode_16_64 0
		.amdhsa_float_denorm_mode_32 3
		.amdhsa_float_denorm_mode_16_64 3
		.amdhsa_dx10_clamp 1
		.amdhsa_ieee_mode 1
		.amdhsa_fp16_overflow 0
		.amdhsa_tg_split 0
		.amdhsa_exception_fp_ieee_invalid_op 0
		.amdhsa_exception_fp_denorm_src 0
		.amdhsa_exception_fp_ieee_div_zero 0
		.amdhsa_exception_fp_ieee_overflow 0
		.amdhsa_exception_fp_ieee_underflow 0
		.amdhsa_exception_fp_ieee_inexact 0
		.amdhsa_exception_int_div_zero 0
	.end_amdhsa_kernel
	.section	.text._ZL18rocblas_trtri_fillILi128E19rocblas_complex_numIfEPKPS1_EvP15_rocblas_handle13rocblas_fill_ililT1_llii,"axG",@progbits,_ZL18rocblas_trtri_fillILi128E19rocblas_complex_numIfEPKPS1_EvP15_rocblas_handle13rocblas_fill_ililT1_llii,comdat
.Lfunc_end24:
	.size	_ZL18rocblas_trtri_fillILi128E19rocblas_complex_numIfEPKPS1_EvP15_rocblas_handle13rocblas_fill_ililT1_llii, .Lfunc_end24-_ZL18rocblas_trtri_fillILi128E19rocblas_complex_numIfEPKPS1_EvP15_rocblas_handle13rocblas_fill_ililT1_llii
                                        ; -- End function
	.set _ZL18rocblas_trtri_fillILi128E19rocblas_complex_numIfEPKPS1_EvP15_rocblas_handle13rocblas_fill_ililT1_llii.num_vgpr, 27
	.set _ZL18rocblas_trtri_fillILi128E19rocblas_complex_numIfEPKPS1_EvP15_rocblas_handle13rocblas_fill_ililT1_llii.num_agpr, 0
	.set _ZL18rocblas_trtri_fillILi128E19rocblas_complex_numIfEPKPS1_EvP15_rocblas_handle13rocblas_fill_ililT1_llii.numbered_sgpr, 37
	.set _ZL18rocblas_trtri_fillILi128E19rocblas_complex_numIfEPKPS1_EvP15_rocblas_handle13rocblas_fill_ililT1_llii.num_named_barrier, 0
	.set _ZL18rocblas_trtri_fillILi128E19rocblas_complex_numIfEPKPS1_EvP15_rocblas_handle13rocblas_fill_ililT1_llii.private_seg_size, 0
	.set _ZL18rocblas_trtri_fillILi128E19rocblas_complex_numIfEPKPS1_EvP15_rocblas_handle13rocblas_fill_ililT1_llii.uses_vcc, 1
	.set _ZL18rocblas_trtri_fillILi128E19rocblas_complex_numIfEPKPS1_EvP15_rocblas_handle13rocblas_fill_ililT1_llii.uses_flat_scratch, 0
	.set _ZL18rocblas_trtri_fillILi128E19rocblas_complex_numIfEPKPS1_EvP15_rocblas_handle13rocblas_fill_ililT1_llii.has_dyn_sized_stack, 0
	.set _ZL18rocblas_trtri_fillILi128E19rocblas_complex_numIfEPKPS1_EvP15_rocblas_handle13rocblas_fill_ililT1_llii.has_recursion, 0
	.set _ZL18rocblas_trtri_fillILi128E19rocblas_complex_numIfEPKPS1_EvP15_rocblas_handle13rocblas_fill_ililT1_llii.has_indirect_call, 0
	.section	.AMDGPU.csdata,"",@progbits
; Kernel info:
; codeLenInByte = 1896
; TotalNumSgprs: 43
; NumVgprs: 27
; NumAgprs: 0
; TotalNumVgprs: 27
; ScratchSize: 0
; MemoryBound: 0
; FloatMode: 240
; IeeeMode: 1
; LDSByteSize: 0 bytes/workgroup (compile time only)
; SGPRBlocks: 5
; VGPRBlocks: 3
; NumSGPRsForWavesPerEU: 43
; NumVGPRsForWavesPerEU: 27
; AccumOffset: 28
; Occupancy: 8
; WaveLimiterHint : 1
; COMPUTE_PGM_RSRC2:SCRATCH_EN: 0
; COMPUTE_PGM_RSRC2:USER_SGPR: 2
; COMPUTE_PGM_RSRC2:TRAP_HANDLER: 0
; COMPUTE_PGM_RSRC2:TGID_X_EN: 1
; COMPUTE_PGM_RSRC2:TGID_Y_EN: 0
; COMPUTE_PGM_RSRC2:TGID_Z_EN: 1
; COMPUTE_PGM_RSRC2:TIDIG_COMP_CNT: 0
; COMPUTE_PGM_RSRC3_GFX90A:ACCUM_OFFSET: 6
; COMPUTE_PGM_RSRC3_GFX90A:TG_SPLIT: 0
	.section	.text._ZL26rocblas_trtri_small_kernelILi16E19rocblas_complex_numIfEPKPKS1_PKPS1_Ev13rocblas_fill_17rocblas_diagonal_iT1_lillT2_lilli,"axG",@progbits,_ZL26rocblas_trtri_small_kernelILi16E19rocblas_complex_numIfEPKPKS1_PKPS1_Ev13rocblas_fill_17rocblas_diagonal_iT1_lillT2_lilli,comdat
	.globl	_ZL26rocblas_trtri_small_kernelILi16E19rocblas_complex_numIfEPKPKS1_PKPS1_Ev13rocblas_fill_17rocblas_diagonal_iT1_lillT2_lilli ; -- Begin function _ZL26rocblas_trtri_small_kernelILi16E19rocblas_complex_numIfEPKPKS1_PKPS1_Ev13rocblas_fill_17rocblas_diagonal_iT1_lillT2_lilli
	.p2align	8
	.type	_ZL26rocblas_trtri_small_kernelILi16E19rocblas_complex_numIfEPKPKS1_PKPS1_Ev13rocblas_fill_17rocblas_diagonal_iT1_lillT2_lilli,@function
_ZL26rocblas_trtri_small_kernelILi16E19rocblas_complex_numIfEPKPKS1_PKPS1_Ev13rocblas_fill_17rocblas_diagonal_iT1_lillT2_lilli: ; @_ZL26rocblas_trtri_small_kernelILi16E19rocblas_complex_numIfEPKPKS1_PKPS1_Ev13rocblas_fill_17rocblas_diagonal_iT1_lillT2_lilli
; %bb.0:
	s_load_dwordx4 s[8:11], s[0:1], 0x0
	s_waitcnt lgkmcnt(0)
	s_cmp_lt_i32 s10, 1
	s_cbranch_scc1 .LBB25_43
; %bb.1:
	s_load_dwordx4 s[16:19], s[0:1], 0x30
	s_load_dwordx2 s[20:21], s[0:1], 0x40
	s_mov_b32 s4, s3
	s_mov_b32 s5, 0
	s_lshl_b64 s[26:27], s[4:5], 3
	s_waitcnt lgkmcnt(0)
	s_add_u32 s4, s18, s26
	s_addc_u32 s5, s19, s27
	s_load_dwordx2 s[18:19], s[4:5], 0x0
	v_cmp_le_u32_e64 s[4:5], s10, v0
	v_cmp_gt_u32_e64 s[6:7], s10, v0
	s_and_saveexec_b64 s[22:23], s[6:7]
	s_cbranch_execz .LBB25_9
; %bb.2:
	s_load_dwordx4 s[12:15], s[0:1], 0x10
	s_load_dword s24, s[0:1], 0x20
	s_mul_i32 s3, s17, s2
	s_mul_hi_u32 s11, s16, s2
	s_mul_i32 s16, s16, s2
	s_waitcnt lgkmcnt(0)
	s_add_u32 s12, s12, s26
	s_addc_u32 s13, s13, s27
	s_load_dwordx2 s[12:13], s[12:13], 0x0
	s_add_i32 s17, s11, s3
	s_cmpk_lg_i32 s8, 0x7a
	s_mov_b64 s[26:27], -1
	s_cbranch_scc0 .LBB25_6
; %bb.3:
	s_add_i32 s11, s10, -1
	s_ashr_i32 s25, s24, 31
	s_mul_i32 s28, s25, s11
	s_mul_hi_u32 s29, s24, s11
	s_add_i32 s29, s29, s28
	s_mul_i32 s28, s24, s11
	s_lshl_b32 s3, s10, 3
	s_lshl_b64 s[26:27], s[16:17], 3
	s_lshl_b64 s[28:29], s[28:29], 3
	v_sub_u32_e32 v1, s11, v0
	s_add_u32 s11, s26, s28
	s_addc_u32 s28, s27, s29
	s_lshl_b64 s[26:27], s[14:15], 3
	s_add_u32 s11, s11, s26
	s_addc_u32 s27, s28, s27
	s_waitcnt lgkmcnt(0)
	s_add_u32 s26, s12, s11
	s_addc_u32 s27, s13, s27
	s_lshl_b64 s[28:29], s[24:25], 3
	v_lshlrev_b32_e32 v2, 3, v0
	v_mov_b32_e32 v3, 0
	s_sub_u32 s28, 0, s28
	v_lshlrev_b32_e32 v1, 3, v1
	v_lshl_add_u64 v[2:3], s[26:27], 0, v[2:3]
	s_mov_b64 s[26:27], 0
	s_subb_u32 s29, 0, s29
	s_mov_b32 s11, s10
.LBB25_4:                               ; =>This Inner Loop Header: Depth=1
	flat_load_dwordx2 v[4:5], v[2:3]
	s_add_i32 s11, s11, -1
	v_cmp_le_u32_e32 vcc, s11, v0
	v_lshl_add_u64 v[2:3], v[2:3], 0, s[28:29]
	s_or_b64 s[26:27], vcc, s[26:27]
	s_waitcnt vmcnt(0) lgkmcnt(0)
	ds_write_b64 v1, v[4:5]
	v_add_u32_e32 v1, s3, v1
	s_andn2_b64 exec, exec, s[26:27]
	s_cbranch_execnz .LBB25_4
; %bb.5:
	s_or_b64 exec, exec, s[26:27]
	s_mov_b64 s[26:27], 0
.LBB25_6:
	s_and_b64 vcc, exec, s[26:27]
	s_cbranch_vccz .LBB25_9
; %bb.7:
	s_lshl_b64 s[14:15], s[14:15], 3
	s_waitcnt lgkmcnt(0)
	s_add_u32 s3, s12, s14
	s_addc_u32 s11, s13, s15
	s_lshl_b64 s[12:13], s[16:17], 3
	s_add_u32 s12, s3, s12
	s_addc_u32 s13, s11, s13
	s_ashr_i32 s25, s24, 31
	v_lshlrev_b32_e32 v2, 3, v0
	v_mov_b32_e32 v3, 0
	v_lshl_add_u64 v[4:5], s[12:13], 0, v[2:3]
	v_add_u32_e32 v1, 1, v0
	s_lshl_b32 s3, s10, 3
	s_lshl_b64 s[12:13], s[24:25], 3
	s_mov_b64 s[14:15], 0
.LBB25_8:                               ; =>This Inner Loop Header: Depth=1
	flat_load_dwordx2 v[6:7], v[4:5]
	v_add_u32_e32 v1, -1, v1
	v_cmp_eq_u32_e32 vcc, 0, v1
	v_lshl_add_u64 v[4:5], v[4:5], 0, s[12:13]
	s_or_b64 s[14:15], vcc, s[14:15]
	s_waitcnt vmcnt(0) lgkmcnt(0)
	ds_write_b64 v2, v[6:7]
	v_add_u32_e32 v2, s3, v2
	s_andn2_b64 exec, exec, s[14:15]
	s_cbranch_execnz .LBB25_8
.LBB25_9:
	s_or_b64 exec, exec, s[22:23]
	s_waitcnt lgkmcnt(0)
	; wave barrier
                                        ; implicit-def: $vgpr2
	s_and_saveexec_b64 s[12:13], s[4:5]
	s_xor_b64 s[4:5], exec, s[12:13]
; %bb.10:
	v_mad_u64_u32 v[2:3], s[12:13], v0, s10, v[0:1]
; %bb.11:
	s_andn2_saveexec_b64 s[12:13], s[4:5]
	s_cbranch_execz .LBB25_24
; %bb.12:
	v_mad_u64_u32 v[2:3], s[4:5], v0, s10, v[0:1]
	s_cmpk_lg_i32 s9, 0x84
	v_lshlrev_b32_e32 v1, 3, v2
	s_mov_b64 s[4:5], -1
	s_cbranch_scc0 .LBB25_22
; %bb.13:
	ds_read_b64 v[4:5], v1
	s_waitcnt lgkmcnt(0)
	v_cmp_neq_f32_e32 vcc, 0, v4
	v_cmp_neq_f32_e64 s[4:5], 0, v5
	s_or_b64 s[4:5], vcc, s[4:5]
	s_and_saveexec_b64 s[14:15], s[4:5]
	s_xor_b64 s[4:5], exec, s[14:15]
	s_cbranch_execz .LBB25_19
; %bb.14:
	v_cmp_ngt_f32_e64 s[14:15], |v4|, |v5|
                                        ; implicit-def: $vgpr6_vgpr7
	s_and_saveexec_b64 s[16:17], s[14:15]
	s_xor_b64 s[14:15], exec, s[16:17]
	s_cbranch_execz .LBB25_16
; %bb.15:
	v_div_scale_f32 v3, s[16:17], v5, v5, v4
	v_rcp_f32_e32 v6, v3
	v_div_scale_f32 v7, vcc, v4, v5, v4
	v_fma_f32 v8, -v3, v6, 1.0
	v_fmac_f32_e32 v6, v8, v6
	v_mul_f32_e32 v8, v7, v6
	v_fma_f32 v9, -v3, v8, v7
	v_fmac_f32_e32 v8, v9, v6
	v_fma_f32 v3, -v3, v8, v7
	v_div_fmas_f32 v3, v3, v6, v8
	v_div_fixup_f32 v3, v3, v5, v4
	v_fmac_f32_e32 v5, v4, v3
	v_div_scale_f32 v4, s[16:17], v5, v5, 1.0
	v_rcp_f32_e32 v6, v4
	s_nop 0
	v_fma_f32 v7, -v4, v6, 1.0
	v_fmac_f32_e32 v6, v7, v6
	v_div_scale_f32 v7, vcc, 1.0, v5, 1.0
	v_mul_f32_e32 v8, v7, v6
	v_fma_f32 v9, -v4, v8, v7
	v_fmac_f32_e32 v8, v9, v6
	v_fma_f32 v4, -v4, v8, v7
	v_div_fmas_f32 v4, v4, v6, v8
	v_div_fixup_f32 v4, v4, v5, 1.0
	v_mul_f32_e32 v6, v3, v4
	v_xor_b32_e32 v7, 0x80000000, v4
                                        ; implicit-def: $vgpr4_vgpr5
.LBB25_16:
	s_andn2_saveexec_b64 s[14:15], s[14:15]
	s_cbranch_execz .LBB25_18
; %bb.17:
	v_div_scale_f32 v3, s[16:17], v4, v4, v5
	v_rcp_f32_e32 v6, v3
	v_div_scale_f32 v7, vcc, v5, v4, v5
	v_fma_f32 v8, -v3, v6, 1.0
	v_fmac_f32_e32 v6, v8, v6
	v_mul_f32_e32 v8, v7, v6
	v_fma_f32 v9, -v3, v8, v7
	v_fmac_f32_e32 v8, v9, v6
	v_fma_f32 v3, -v3, v8, v7
	v_div_fmas_f32 v3, v3, v6, v8
	v_div_fixup_f32 v3, v3, v4, v5
	v_fmac_f32_e32 v4, v5, v3
	v_div_scale_f32 v5, s[16:17], v4, v4, 1.0
	v_rcp_f32_e32 v6, v5
	s_nop 0
	v_fma_f32 v7, -v5, v6, 1.0
	v_fmac_f32_e32 v6, v7, v6
	v_div_scale_f32 v7, vcc, 1.0, v4, 1.0
	v_mul_f32_e32 v8, v7, v6
	v_fma_f32 v9, -v5, v8, v7
	v_fmac_f32_e32 v8, v9, v6
	v_fma_f32 v5, -v5, v8, v7
	v_div_fmas_f32 v5, v5, v6, v8
	v_div_fixup_f32 v6, v5, v4, 1.0
	v_mul_f32_e64 v7, v3, -v6
.LBB25_18:
	s_or_b64 exec, exec, s[14:15]
	ds_write_b64 v1, v[6:7]
.LBB25_19:
	s_andn2_saveexec_b64 s[4:5], s[4:5]
; %bb.20:
	v_mov_b32_e32 v4, 1.0
	v_mov_b32_e32 v5, 0
	ds_write_b64 v1, v[4:5]
; %bb.21:
	s_or_b64 exec, exec, s[4:5]
	s_mov_b64 s[4:5], 0
.LBB25_22:
	s_andn2_b64 vcc, exec, s[4:5]
	s_cbranch_vccnz .LBB25_24
; %bb.23:
	v_mov_b32_e32 v4, 1.0
	v_mov_b32_e32 v5, 0
	ds_write_b64 v1, v[4:5]
.LBB25_24:
	s_or_b64 exec, exec, s[12:13]
	v_lshlrev_b32_e32 v1, 3, v0
	s_lshl_b32 s9, s10, 3
	v_lshlrev_b32_e32 v3, 3, v2
	v_add_u32_e32 v4, s9, v1
	s_mov_b32 s3, 8
	s_add_i32 s11, s9, 8
	s_mov_b32 s12, 0
	s_waitcnt lgkmcnt(0)
	; wave barrier
	s_branch .LBB25_26
.LBB25_25:                              ;   in Loop: Header=BB25_26 Depth=1
	s_add_i32 s3, s3, s11
	s_cmp_eq_u32 s12, s10
	v_add_u32_e32 v4, s9, v4
	; wave barrier
	s_cbranch_scc1 .LBB25_35
.LBB25_26:                              ; =>This Loop Header: Depth=1
                                        ;     Child Loop BB25_31 Depth 2
	v_cmp_lt_u32_e32 vcc, s12, v0
	v_mov_b32_e32 v5, 0
	s_mul_i32 s13, s12, s10
	v_mov_b32_e32 v2, 0
	s_and_saveexec_b64 s[4:5], vcc
	s_cbranch_execz .LBB25_28
; %bb.27:                               ;   in Loop: Header=BB25_26 Depth=1
	s_lshl_b32 s14, s13, 3
	s_lshl_b32 s15, s12, 3
	v_add_u32_e32 v2, s14, v1
	s_add_i32 s14, s15, s14
	v_mov_b32_e32 v5, s14
	ds_read_b64 v[6:7], v2
	ds_read_b64 v[8:9], v5
	s_waitcnt lgkmcnt(0)
	v_mul_f32_e32 v2, v9, v7
	v_mul_f32_e32 v7, v8, v7
	v_fma_f32 v2, v8, v6, -v2
	v_fmac_f32_e32 v7, v9, v6
	v_add_f32_e32 v5, 0, v2
	v_add_f32_e32 v2, 0, v7
.LBB25_28:                              ;   in Loop: Header=BB25_26 Depth=1
	s_or_b64 exec, exec, s[4:5]
	s_add_i32 s12, s12, 1
	s_cmp_ge_i32 s12, s10
	; wave barrier
	s_cbranch_scc1 .LBB25_25
; %bb.29:                               ;   in Loop: Header=BB25_26 Depth=1
	v_lshl_add_u32 v6, s13, 3, v1
	s_mov_b32 s13, s3
	v_mov_b32_e32 v7, v4
	s_mov_b32 s14, s12
	s_branch .LBB25_31
.LBB25_30:                              ;   in Loop: Header=BB25_31 Depth=2
	s_or_b64 exec, exec, s[4:5]
	s_add_i32 s14, s14, 1
	s_add_i32 s13, s13, 8
	s_cmp_eq_u32 s10, s14
	v_add_u32_e32 v7, s9, v7
	; wave barrier
	s_cbranch_scc1 .LBB25_25
.LBB25_31:                              ;   Parent Loop BB25_26 Depth=1
                                        ; =>  This Inner Loop Header: Depth=2
	v_cmp_eq_u32_e32 vcc, s14, v0
	s_and_saveexec_b64 s[4:5], vcc
	s_cbranch_execz .LBB25_33
; %bb.32:                               ;   in Loop: Header=BB25_31 Depth=2
	ds_read_b64 v[8:9], v3
	v_sub_f32_e32 v10, 0, v5
	s_waitcnt lgkmcnt(0)
	v_pk_mul_f32 v[12:13], v[2:3], v[8:9] op_sel:[0,1] op_sel_hi:[0,0]
	v_pk_fma_f32 v[14:15], v[10:11], v[8:9], v[12:13]
	v_pk_fma_f32 v[8:9], v[10:11], v[8:9], v[12:13] op_sel_hi:[0,1,1] neg_lo:[0,0,1] neg_hi:[0,0,1]
	v_mov_b32_e32 v15, v9
	ds_write_b64 v6, v[14:15]
.LBB25_33:                              ;   in Loop: Header=BB25_31 Depth=2
	s_or_b64 exec, exec, s[4:5]
	v_cmp_lt_u32_e32 vcc, s14, v0
	s_waitcnt lgkmcnt(0)
	; wave barrier
	s_and_saveexec_b64 s[4:5], vcc
	s_cbranch_execz .LBB25_30
; %bb.34:                               ;   in Loop: Header=BB25_31 Depth=2
	v_mov_b32_e32 v10, s13
	ds_read_b64 v[8:9], v7
	ds_read_b64 v[10:11], v10
	s_waitcnt lgkmcnt(0)
	v_mul_f32_e32 v12, v11, v9
	v_mul_f32_e32 v9, v10, v9
	v_fma_f32 v10, v10, v8, -v12
	v_fmac_f32_e32 v9, v11, v8
	v_add_f32_e32 v5, v5, v10
	v_add_f32_e32 v2, v2, v9
	s_branch .LBB25_30
.LBB25_35:
	s_and_saveexec_b64 s[4:5], s[6:7]
	s_cbranch_execz .LBB25_43
; %bb.36:
	s_load_dwordx2 s[6:7], s[0:1], 0x58
	s_load_dword s4, s[0:1], 0x48
	s_waitcnt lgkmcnt(0)
	s_mul_i32 s0, s7, s2
	s_mul_hi_u32 s1, s6, s2
	s_add_i32 s1, s1, s0
	s_mul_i32 s0, s6, s2
	s_cmpk_lg_i32 s8, 0x7a
	s_mov_b64 s[2:3], -1
	s_cbranch_scc0 .LBB25_40
; %bb.37:
	s_add_i32 s6, s10, -1
	s_ashr_i32 s5, s4, 31
	s_mul_i32 s7, s5, s6
	s_mul_hi_u32 s8, s4, s6
	v_sub_u32_e32 v2, s6, v0
	s_add_i32 s7, s8, s7
	s_mul_i32 s6, s4, s6
	s_lshl_b64 s[2:3], s[0:1], 3
	s_lshl_b64 s[6:7], s[6:7], 3
	s_add_u32 s6, s2, s6
	s_addc_u32 s7, s3, s7
	s_lshl_b64 s[2:3], s[20:21], 3
	s_add_u32 s2, s6, s2
	s_addc_u32 s3, s7, s3
	s_add_u32 s2, s18, s2
	s_addc_u32 s3, s19, s3
	s_lshl_b64 s[6:7], s[4:5], 3
	v_lshlrev_b32_e32 v4, 3, v2
	v_lshlrev_b32_e32 v2, 3, v0
	v_mov_b32_e32 v3, 0
	s_sub_u32 s6, 0, s6
	v_lshl_add_u64 v[2:3], s[2:3], 0, v[2:3]
	s_mov_b64 s[2:3], 0
	s_subb_u32 s7, 0, s7
.LBB25_38:                              ; =>This Inner Loop Header: Depth=1
	ds_read_b64 v[6:7], v4
	s_add_i32 s10, s10, -1
	v_cmp_le_u32_e32 vcc, s10, v0
	v_add_u32_e32 v4, s9, v4
	s_or_b64 s[2:3], vcc, s[2:3]
	s_waitcnt lgkmcnt(0)
	flat_store_dwordx2 v[2:3], v[6:7]
	v_lshl_add_u64 v[2:3], v[2:3], 0, s[6:7]
	s_andn2_b64 exec, exec, s[2:3]
	s_cbranch_execnz .LBB25_38
; %bb.39:
	s_or_b64 exec, exec, s[2:3]
	s_mov_b64 s[2:3], 0
.LBB25_40:
	s_and_b64 vcc, exec, s[2:3]
	s_cbranch_vccz .LBB25_43
; %bb.41:
	s_lshl_b64 s[2:3], s[20:21], 3
	s_add_u32 s2, s18, s2
	s_addc_u32 s3, s19, s3
	s_lshl_b64 s[0:1], s[0:1], 3
	s_add_u32 s0, s2, s0
	s_addc_u32 s1, s3, s1
	s_ashr_i32 s5, s4, 31
	v_lshlrev_b32_e32 v2, 3, v0
	v_mov_b32_e32 v3, 0
	v_lshl_add_u64 v[2:3], s[0:1], 0, v[2:3]
	v_add_u32_e32 v0, 1, v0
	s_lshl_b64 s[0:1], s[4:5], 3
	s_mov_b64 s[2:3], 0
.LBB25_42:                              ; =>This Inner Loop Header: Depth=1
	ds_read_b64 v[4:5], v1
	v_add_u32_e32 v0, -1, v0
	v_cmp_eq_u32_e32 vcc, 0, v0
	v_add_u32_e32 v1, s9, v1
	s_or_b64 s[2:3], vcc, s[2:3]
	s_waitcnt lgkmcnt(0)
	flat_store_dwordx2 v[2:3], v[4:5]
	v_lshl_add_u64 v[2:3], v[2:3], 0, s[0:1]
	s_andn2_b64 exec, exec, s[2:3]
	s_cbranch_execnz .LBB25_42
.LBB25_43:
	s_endpgm
	.section	.rodata,"a",@progbits
	.p2align	6, 0x0
	.amdhsa_kernel _ZL26rocblas_trtri_small_kernelILi16E19rocblas_complex_numIfEPKPKS1_PKPS1_Ev13rocblas_fill_17rocblas_diagonal_iT1_lillT2_lilli
		.amdhsa_group_segment_fixed_size 2048
		.amdhsa_private_segment_fixed_size 0
		.amdhsa_kernarg_size 100
		.amdhsa_user_sgpr_count 2
		.amdhsa_user_sgpr_dispatch_ptr 0
		.amdhsa_user_sgpr_queue_ptr 0
		.amdhsa_user_sgpr_kernarg_segment_ptr 1
		.amdhsa_user_sgpr_dispatch_id 0
		.amdhsa_user_sgpr_kernarg_preload_length 0
		.amdhsa_user_sgpr_kernarg_preload_offset 0
		.amdhsa_user_sgpr_private_segment_size 0
		.amdhsa_uses_dynamic_stack 0
		.amdhsa_enable_private_segment 0
		.amdhsa_system_sgpr_workgroup_id_x 1
		.amdhsa_system_sgpr_workgroup_id_y 0
		.amdhsa_system_sgpr_workgroup_id_z 1
		.amdhsa_system_sgpr_workgroup_info 0
		.amdhsa_system_vgpr_workitem_id 0
		.amdhsa_next_free_vgpr 16
		.amdhsa_next_free_sgpr 30
		.amdhsa_accum_offset 16
		.amdhsa_reserve_vcc 1
		.amdhsa_float_round_mode_32 0
		.amdhsa_float_round_mode_16_64 0
		.amdhsa_float_denorm_mode_32 3
		.amdhsa_float_denorm_mode_16_64 3
		.amdhsa_dx10_clamp 1
		.amdhsa_ieee_mode 1
		.amdhsa_fp16_overflow 0
		.amdhsa_tg_split 0
		.amdhsa_exception_fp_ieee_invalid_op 0
		.amdhsa_exception_fp_denorm_src 0
		.amdhsa_exception_fp_ieee_div_zero 0
		.amdhsa_exception_fp_ieee_overflow 0
		.amdhsa_exception_fp_ieee_underflow 0
		.amdhsa_exception_fp_ieee_inexact 0
		.amdhsa_exception_int_div_zero 0
	.end_amdhsa_kernel
	.section	.text._ZL26rocblas_trtri_small_kernelILi16E19rocblas_complex_numIfEPKPKS1_PKPS1_Ev13rocblas_fill_17rocblas_diagonal_iT1_lillT2_lilli,"axG",@progbits,_ZL26rocblas_trtri_small_kernelILi16E19rocblas_complex_numIfEPKPKS1_PKPS1_Ev13rocblas_fill_17rocblas_diagonal_iT1_lillT2_lilli,comdat
.Lfunc_end25:
	.size	_ZL26rocblas_trtri_small_kernelILi16E19rocblas_complex_numIfEPKPKS1_PKPS1_Ev13rocblas_fill_17rocblas_diagonal_iT1_lillT2_lilli, .Lfunc_end25-_ZL26rocblas_trtri_small_kernelILi16E19rocblas_complex_numIfEPKPKS1_PKPS1_Ev13rocblas_fill_17rocblas_diagonal_iT1_lillT2_lilli
                                        ; -- End function
	.set _ZL26rocblas_trtri_small_kernelILi16E19rocblas_complex_numIfEPKPKS1_PKPS1_Ev13rocblas_fill_17rocblas_diagonal_iT1_lillT2_lilli.num_vgpr, 16
	.set _ZL26rocblas_trtri_small_kernelILi16E19rocblas_complex_numIfEPKPKS1_PKPS1_Ev13rocblas_fill_17rocblas_diagonal_iT1_lillT2_lilli.num_agpr, 0
	.set _ZL26rocblas_trtri_small_kernelILi16E19rocblas_complex_numIfEPKPKS1_PKPS1_Ev13rocblas_fill_17rocblas_diagonal_iT1_lillT2_lilli.numbered_sgpr, 30
	.set _ZL26rocblas_trtri_small_kernelILi16E19rocblas_complex_numIfEPKPKS1_PKPS1_Ev13rocblas_fill_17rocblas_diagonal_iT1_lillT2_lilli.num_named_barrier, 0
	.set _ZL26rocblas_trtri_small_kernelILi16E19rocblas_complex_numIfEPKPKS1_PKPS1_Ev13rocblas_fill_17rocblas_diagonal_iT1_lillT2_lilli.private_seg_size, 0
	.set _ZL26rocblas_trtri_small_kernelILi16E19rocblas_complex_numIfEPKPKS1_PKPS1_Ev13rocblas_fill_17rocblas_diagonal_iT1_lillT2_lilli.uses_vcc, 1
	.set _ZL26rocblas_trtri_small_kernelILi16E19rocblas_complex_numIfEPKPKS1_PKPS1_Ev13rocblas_fill_17rocblas_diagonal_iT1_lillT2_lilli.uses_flat_scratch, 0
	.set _ZL26rocblas_trtri_small_kernelILi16E19rocblas_complex_numIfEPKPKS1_PKPS1_Ev13rocblas_fill_17rocblas_diagonal_iT1_lillT2_lilli.has_dyn_sized_stack, 0
	.set _ZL26rocblas_trtri_small_kernelILi16E19rocblas_complex_numIfEPKPKS1_PKPS1_Ev13rocblas_fill_17rocblas_diagonal_iT1_lillT2_lilli.has_recursion, 0
	.set _ZL26rocblas_trtri_small_kernelILi16E19rocblas_complex_numIfEPKPKS1_PKPS1_Ev13rocblas_fill_17rocblas_diagonal_iT1_lillT2_lilli.has_indirect_call, 0
	.section	.AMDGPU.csdata,"",@progbits
; Kernel info:
; codeLenInByte = 1652
; TotalNumSgprs: 36
; NumVgprs: 16
; NumAgprs: 0
; TotalNumVgprs: 16
; ScratchSize: 0
; MemoryBound: 0
; FloatMode: 240
; IeeeMode: 1
; LDSByteSize: 2048 bytes/workgroup (compile time only)
; SGPRBlocks: 4
; VGPRBlocks: 1
; NumSGPRsForWavesPerEU: 36
; NumVGPRsForWavesPerEU: 16
; AccumOffset: 16
; Occupancy: 8
; WaveLimiterHint : 0
; COMPUTE_PGM_RSRC2:SCRATCH_EN: 0
; COMPUTE_PGM_RSRC2:USER_SGPR: 2
; COMPUTE_PGM_RSRC2:TRAP_HANDLER: 0
; COMPUTE_PGM_RSRC2:TGID_X_EN: 1
; COMPUTE_PGM_RSRC2:TGID_Y_EN: 0
; COMPUTE_PGM_RSRC2:TGID_Z_EN: 1
; COMPUTE_PGM_RSRC2:TIDIG_COMP_CNT: 0
; COMPUTE_PGM_RSRC3_GFX90A:ACCUM_OFFSET: 3
; COMPUTE_PGM_RSRC3_GFX90A:TG_SPLIT: 0
	.section	.text._ZL29rocblas_trtri_diagonal_kernelILi16E19rocblas_complex_numIfEPKPKS1_PKPS1_Ev13rocblas_fill_17rocblas_diagonal_iT1_lillT2_lilli,"axG",@progbits,_ZL29rocblas_trtri_diagonal_kernelILi16E19rocblas_complex_numIfEPKPKS1_PKPS1_Ev13rocblas_fill_17rocblas_diagonal_iT1_lillT2_lilli,comdat
	.globl	_ZL29rocblas_trtri_diagonal_kernelILi16E19rocblas_complex_numIfEPKPKS1_PKPS1_Ev13rocblas_fill_17rocblas_diagonal_iT1_lillT2_lilli ; -- Begin function _ZL29rocblas_trtri_diagonal_kernelILi16E19rocblas_complex_numIfEPKPKS1_PKPS1_Ev13rocblas_fill_17rocblas_diagonal_iT1_lillT2_lilli
	.p2align	8
	.type	_ZL29rocblas_trtri_diagonal_kernelILi16E19rocblas_complex_numIfEPKPKS1_PKPS1_Ev13rocblas_fill_17rocblas_diagonal_iT1_lillT2_lilli,@function
_ZL29rocblas_trtri_diagonal_kernelILi16E19rocblas_complex_numIfEPKPKS1_PKPS1_Ev13rocblas_fill_17rocblas_diagonal_iT1_lillT2_lilli: ; @_ZL29rocblas_trtri_diagonal_kernelILi16E19rocblas_complex_numIfEPKPKS1_PKPS1_Ev13rocblas_fill_17rocblas_diagonal_iT1_lillT2_lilli
; %bb.0:
	s_load_dwordx4 s[8:11], s[0:1], 0x0
	s_mov_b32 s4, s3
	s_waitcnt lgkmcnt(0)
	s_ashr_i32 s3, s10, 31
	s_lshr_b32 s3, s3, 27
	s_add_i32 s3, s10, s3
	s_ashr_i32 s3, s3, 5
	v_cvt_f32_u32_e32 v1, s3
	s_sub_i32 s5, 0, s3
	v_rcp_iflag_f32_e32 v1, v1
	s_nop 0
	v_mul_f32_e32 v1, 0x4f7ffffe, v1
	v_cvt_u32_f32_e32 v1, v1
	s_nop 0
	v_readfirstlane_b32 s6, v1
	s_mul_i32 s5, s5, s6
	s_mul_hi_u32 s5, s6, s5
	s_add_i32 s6, s6, s5
	s_mul_hi_u32 s5, s2, s6
	s_mul_i32 s6, s5, s3
	s_sub_i32 s6, s2, s6
	s_add_i32 s7, s5, 1
	s_sub_i32 s11, s6, s3
	s_cmp_ge_u32 s6, s3
	s_cselect_b32 s5, s7, s5
	s_cselect_b32 s6, s11, s6
	s_add_i32 s7, s5, 1
	s_cmp_ge_u32 s6, s3
	s_cselect_b32 s30, s7, s5
	s_mul_i32 s3, s30, s3
	s_sub_i32 s31, s2, s3
	s_lshl_b32 s2, s31, 4
	s_cmp_eq_u32 s10, s2
	s_mov_b32 s5, 0
	s_cbranch_scc1 .LBB26_100
; %bb.1:
	s_load_dwordx4 s[12:15], s[0:1], 0x10
	s_load_dwordx4 s[16:19], s[0:1], 0x30
	s_load_dwordx2 s[20:21], s[0:1], 0x40
	s_lshl_b64 s[4:5], s[4:5], 3
	v_mov_b32_e32 v2, v0
	s_waitcnt lgkmcnt(0)
	s_add_u32 s6, s12, s4
	s_addc_u32 s7, s13, s5
	s_add_u32 s4, s18, s4
	s_addc_u32 s5, s19, s5
	s_load_dwordx2 s[22:23], s[6:7], 0x0
	s_load_dwordx2 s[12:13], s[4:5], 0x0
	s_sub_i32 s29, s10, s2
	s_min_u32 s28, s29, 16
	s_lshl_b32 s24, s28, 1
	v_cmp_gt_u32_e64 s[6:7], s28, v0
	v_cmp_le_u32_e64 s[4:5], s28, v0
	v_cmp_gt_u32_e64 s[2:3], s24, v0
	v_cmp_le_u32_e32 vcc, s24, v0
	s_and_saveexec_b64 s[10:11], s[4:5]
	s_cbranch_execz .LBB26_7
; %bb.2:
                                        ; implicit-def: $vgpr2
	s_and_saveexec_b64 s[18:19], vcc
	s_xor_b64 s[18:19], exec, s[18:19]
; %bb.3:
	v_subrev_u32_e32 v2, s24, v0
; %bb.4:
	s_andn2_saveexec_b64 s[18:19], s[18:19]
; %bb.5:
	v_subrev_u32_e32 v2, s28, v0
; %bb.6:
	s_or_b64 exec, exec, s[18:19]
.LBB26_7:
	s_or_b64 exec, exec, s[10:11]
	s_load_dword s10, s[0:1], 0x20
	v_mov_b32_e32 v1, 0x1800
	v_mov_b32_e32 v3, 0x1000
	v_cndmask_b32_e64 v1, 0, v1, s[2:3]
	v_cndmask_b32_e64 v8, v1, v3, s[6:7]
	s_waitcnt lgkmcnt(0)
	s_ashr_i32 s11, s10, 31
	s_lshl_b64 s[6:7], s[10:11], 5
	s_add_u32 s6, s6, 32
	s_addc_u32 s7, s7, 0
	s_mul_i32 s7, s7, s31
	s_mul_hi_u32 s18, s6, s31
	s_add_i32 s7, s18, s7
	s_mul_i32 s17, s17, s30
	s_mul_hi_u32 s18, s16, s30
	s_mul_i32 s6, s6, s31
	s_add_i32 s17, s18, s17
	s_mul_i32 s16, s16, s30
	s_and_saveexec_b64 s[18:19], vcc
	s_xor_b64 s[18:19], exec, s[18:19]
	s_cbranch_execz .LBB26_17
; %bb.8:
	s_mul_i32 s24, s28, 3
	v_cmp_gt_u32_e32 vcc, s24, v0
	s_and_saveexec_b64 s[24:25], vcc
	s_cbranch_execz .LBB26_16
; %bb.9:
	s_cmpk_eq_i32 s8, 0x7a
	s_mov_b64 s[26:27], -1
	s_cbranch_scc1 .LBB26_13
; %bb.10:
	s_add_i32 s26, s28, -1
	s_mul_i32 s27, s28, s26
	s_lshl_b32 s35, s28, 3
	s_add_i32 s33, s28, 1
	s_lshl_b32 s27, s27, 3
	v_lshlrev_b32_e32 v1, 3, v2
	s_sub_i32 s34, 0, s35
	s_lshl_b64 s[36:37], s[16:17], 3
	s_lshl_b64 s[38:39], s[6:7], 3
	v_add3_u32 v1, s27, v1, v8
	s_mov_b32 s27, 0
	s_add_u32 s36, s36, s38
	s_addc_u32 s37, s37, s39
	s_lshl_b64 s[26:27], s[26:27], 3
	s_add_u32 s26, s35, s26
	s_addc_u32 s27, 0, s27
	s_mul_i32 s35, s26, s11
	s_mul_hi_u32 s38, s26, s10
	s_add_i32 s35, s38, s35
	s_mul_i32 s27, s27, s10
	s_add_i32 s35, s35, s27
	s_mul_i32 s26, s26, s10
	s_add_u32 s36, s36, s26
	s_addc_u32 s35, s37, s35
	s_lshl_b64 s[26:27], s[14:15], 3
	s_add_u32 s26, s36, s26
	s_addc_u32 s27, s35, s27
	s_add_u32 s26, s22, s26
	v_ashrrev_i32_e32 v3, 31, v2
	s_addc_u32 s27, s23, s27
	v_lshl_add_u64 v[4:5], v[2:3], 3, s[26:27]
	s_lshl_b64 s[26:27], s[10:11], 3
	s_sub_u32 s26, 0, s26
	s_subb_u32 s27, 0, s27
.LBB26_11:                              ; =>This Inner Loop Header: Depth=1
	flat_load_dwordx2 v[6:7], v[4:5]
	s_add_i32 s33, s33, -1
	v_lshl_add_u64 v[4:5], v[4:5], 0, s[26:27]
	s_cmp_gt_u32 s33, 1
	s_waitcnt vmcnt(0) lgkmcnt(0)
	ds_write_b64 v1, v[6:7]
	v_add_u32_e32 v1, s34, v1
	s_cbranch_scc1 .LBB26_11
; %bb.12:
	s_mov_b64 s[26:27], 0
.LBB26_13:
	s_and_b64 vcc, exec, s[26:27]
	s_cbranch_vccz .LBB26_16
; %bb.14:
	s_lshl_b64 s[26:27], s[14:15], 3
	s_add_u32 s33, s22, s26
	s_addc_u32 s34, s23, s27
	s_lshl_b64 s[26:27], s[6:7], 3
	s_add_u32 s33, s33, s26
	s_addc_u32 s34, s34, s27
	s_lshl_b64 s[26:27], s[16:17], 3
	s_add_u32 s26, s33, s26
	v_add_u32_e32 v4, s28, v2
	s_addc_u32 s27, s34, s27
	v_ashrrev_i32_e32 v5, 31, v4
	v_lshl_add_u64 v[4:5], v[4:5], 3, s[26:27]
	v_lshl_add_u32 v1, v2, 3, v8
	s_lshl_b32 s33, s28, 3
	s_lshl_b64 s[26:27], s[10:11], 3
	s_mov_b32 s34, s28
.LBB26_15:                              ; =>This Inner Loop Header: Depth=1
	flat_load_dwordx2 v[6:7], v[4:5]
	s_add_i32 s34, s34, -1
	v_lshl_add_u64 v[4:5], v[4:5], 0, s[26:27]
	s_cmp_eq_u32 s34, 0
	s_waitcnt vmcnt(0) lgkmcnt(0)
	ds_write_b64 v1, v[6:7]
	v_add_u32_e32 v1, s33, v1
	s_cbranch_scc0 .LBB26_15
.LBB26_16:
	s_or_b64 exec, exec, s[24:25]
.LBB26_17:
	s_andn2_saveexec_b64 s[18:19], s[18:19]
	s_cbranch_execz .LBB26_31
; %bb.18:
	v_mov_b64_e32 v[4:5], 0
	s_and_saveexec_b64 s[24:25], s[4:5]
	s_cbranch_execnz .LBB26_21
; %bb.19:
	s_or_b64 exec, exec, s[24:25]
	s_cmpk_lg_i32 s8, 0x7a
	s_mov_b64 s[24:25], -1
	s_cbranch_scc1 .LBB26_22
.LBB26_20:
	s_and_b64 vcc, exec, s[24:25]
	s_cbranch_vccnz .LBB26_27
	s_branch .LBB26_31
.LBB26_21:
	s_add_u32 s26, s10, 1
	s_addc_u32 s27, s11, 0
	s_mul_i32 s27, s27, s28
	s_mul_hi_u32 s33, s26, s28
	s_add_i32 s27, s33, s27
	s_mul_i32 s26, s26, s28
	v_mov_b64_e32 v[4:5], s[26:27]
	s_or_b64 exec, exec, s[24:25]
	s_cmpk_lg_i32 s8, 0x7a
	s_mov_b64 s[24:25], -1
	s_cbranch_scc0 .LBB26_20
.LBB26_22:
	s_add_i32 s33, s28, -1
	s_lshl_b64 s[24:25], s[16:17], 3
	s_lshl_b64 s[26:27], s[6:7], 3
	s_add_u32 s26, s24, s26
	s_addc_u32 s27, s25, s27
	s_mul_i32 s24, s11, s33
	s_mul_hi_u32 s25, s10, s33
	s_add_i32 s25, s25, s24
	s_mul_i32 s24, s10, s33
	s_lshl_b64 s[24:25], s[24:25], 3
	s_add_u32 s26, s26, s24
	s_addc_u32 s27, s27, s25
	s_lshl_b64 s[24:25], s[14:15], 3
	s_add_u32 s24, s24, s26
	s_addc_u32 s25, s25, s27
	v_ashrrev_i32_e32 v3, 31, v2
	v_lshl_add_u64 v[6:7], v[4:5], 3, s[24:25]
	s_lshl_b64 s[24:25], s[10:11], 3
	v_sub_u32_e32 v1, s33, v2
	v_lshl_add_u64 v[6:7], v[2:3], 3, v[6:7]
	s_sub_u32 s24, 0, s24
	v_lshl_add_u32 v1, v1, 3, v8
	v_lshl_add_u64 v[6:7], s[22:23], 0, v[6:7]
	s_subb_u32 s25, 0, s25
	s_lshl_b32 s33, s28, 3
	s_mov_b32 s34, s28
	s_branch .LBB26_24
.LBB26_23:                              ;   in Loop: Header=BB26_24 Depth=1
	s_or_b64 exec, exec, s[26:27]
	s_waitcnt vmcnt(0) lgkmcnt(0)
	ds_write_b64 v1, v[10:11]
	v_lshl_add_u64 v[6:7], v[6:7], 0, s[24:25]
	s_cmp_lt_i32 s34, 1
	v_add_u32_e32 v1, s33, v1
	s_cbranch_scc1 .LBB26_26
.LBB26_24:                              ; =>This Inner Loop Header: Depth=1
	s_add_i32 s34, s34, -1
	v_cmp_ge_i32_e32 vcc, s34, v2
	v_mov_b32_e32 v10, 0
	v_mov_b32_e32 v11, 0
	s_and_saveexec_b64 s[26:27], vcc
	s_cbranch_execz .LBB26_23
; %bb.25:                               ;   in Loop: Header=BB26_24 Depth=1
	flat_load_dwordx2 v[10:11], v[6:7]
	s_branch .LBB26_23
.LBB26_26:
	s_branch .LBB26_31
.LBB26_27:
	s_lshl_b64 s[16:17], s[16:17], 3
	s_lshl_b64 s[6:7], s[6:7], 3
	s_add_u32 s16, s16, s6
	s_addc_u32 s17, s17, s7
	s_lshl_b64 s[6:7], s[14:15], 3
	s_add_u32 s6, s6, s16
	s_addc_u32 s7, s7, s17
	v_ashrrev_i32_e32 v3, 31, v2
	v_lshl_add_u64 v[4:5], v[4:5], 3, s[6:7]
	v_lshl_add_u64 v[4:5], v[2:3], 3, v[4:5]
	v_lshl_add_u32 v1, v2, 3, v8
	v_lshl_add_u64 v[4:5], s[22:23], 0, v[4:5]
	s_lshl_b64 s[6:7], s[10:11], 3
	s_lshl_b32 s14, s28, 3
	s_mov_b32 s15, 0
	s_branch .LBB26_29
.LBB26_28:                              ;   in Loop: Header=BB26_29 Depth=1
	s_or_b64 exec, exec, s[10:11]
	s_add_i32 s15, s15, 1
	s_waitcnt vmcnt(0) lgkmcnt(0)
	ds_write_b64 v1, v[6:7]
	v_lshl_add_u64 v[4:5], v[4:5], 0, s[6:7]
	s_cmp_eq_u32 s28, s15
	v_add_u32_e32 v1, s14, v1
	s_cbranch_scc1 .LBB26_31
.LBB26_29:                              ; =>This Inner Loop Header: Depth=1
	v_cmp_le_i32_e32 vcc, s15, v2
	v_mov_b32_e32 v6, 0
	v_mov_b32_e32 v7, 0
	s_and_saveexec_b64 s[10:11], vcc
	s_cbranch_execz .LBB26_28
; %bb.30:                               ;   in Loop: Header=BB26_29 Depth=1
	flat_load_dwordx2 v[6:7], v[4:5]
	s_branch .LBB26_28
.LBB26_31:
	s_or_b64 exec, exec, s[18:19]
	s_waitcnt lgkmcnt(0)
	s_barrier
	s_and_saveexec_b64 s[10:11], s[2:3]
	s_cbranch_execz .LBB26_44
; %bb.32:
	s_add_i32 s6, s28, 1
	v_mul_i32_i24_e32 v1, s6, v2
	s_cmpk_lg_i32 s9, 0x84
	v_lshl_add_u32 v1, v1, 3, v8
	s_mov_b64 s[6:7], -1
	s_cbranch_scc0 .LBB26_42
; %bb.33:
	ds_read_b64 v[4:5], v1
	s_waitcnt lgkmcnt(0)
	v_cmp_neq_f32_e32 vcc, 0, v4
	v_cmp_neq_f32_e64 s[6:7], 0, v5
	s_or_b64 s[6:7], vcc, s[6:7]
	s_and_saveexec_b64 s[14:15], s[6:7]
	s_xor_b64 s[6:7], exec, s[14:15]
	s_cbranch_execz .LBB26_39
; %bb.34:
	v_cmp_ngt_f32_e64 s[14:15], |v4|, |v5|
                                        ; implicit-def: $vgpr6_vgpr7
	s_and_saveexec_b64 s[16:17], s[14:15]
	s_xor_b64 s[14:15], exec, s[16:17]
	s_cbranch_execz .LBB26_36
; %bb.35:
	v_div_scale_f32 v3, s[16:17], v5, v5, v4
	v_rcp_f32_e32 v6, v3
	v_div_scale_f32 v7, vcc, v4, v5, v4
	v_fma_f32 v9, -v3, v6, 1.0
	v_fmac_f32_e32 v6, v9, v6
	v_mul_f32_e32 v9, v7, v6
	v_fma_f32 v10, -v3, v9, v7
	v_fmac_f32_e32 v9, v10, v6
	v_fma_f32 v3, -v3, v9, v7
	v_div_fmas_f32 v3, v3, v6, v9
	v_div_fixup_f32 v3, v3, v5, v4
	v_fmac_f32_e32 v5, v4, v3
	v_div_scale_f32 v4, s[16:17], v5, v5, 1.0
	v_rcp_f32_e32 v6, v4
	s_nop 0
	v_fma_f32 v7, -v4, v6, 1.0
	v_fmac_f32_e32 v6, v7, v6
	v_div_scale_f32 v7, vcc, 1.0, v5, 1.0
	v_mul_f32_e32 v9, v7, v6
	v_fma_f32 v10, -v4, v9, v7
	v_fmac_f32_e32 v9, v10, v6
	v_fma_f32 v4, -v4, v9, v7
	v_div_fmas_f32 v4, v4, v6, v9
	v_div_fixup_f32 v4, v4, v5, 1.0
	v_mul_f32_e32 v6, v3, v4
	v_xor_b32_e32 v7, 0x80000000, v4
                                        ; implicit-def: $vgpr4_vgpr5
.LBB26_36:
	s_andn2_saveexec_b64 s[14:15], s[14:15]
	s_cbranch_execz .LBB26_38
; %bb.37:
	v_div_scale_f32 v3, s[16:17], v4, v4, v5
	v_rcp_f32_e32 v6, v3
	v_div_scale_f32 v7, vcc, v5, v4, v5
	v_fma_f32 v9, -v3, v6, 1.0
	v_fmac_f32_e32 v6, v9, v6
	v_mul_f32_e32 v9, v7, v6
	v_fma_f32 v10, -v3, v9, v7
	v_fmac_f32_e32 v9, v10, v6
	v_fma_f32 v3, -v3, v9, v7
	v_div_fmas_f32 v3, v3, v6, v9
	v_div_fixup_f32 v3, v3, v4, v5
	v_fmac_f32_e32 v4, v5, v3
	v_div_scale_f32 v5, s[16:17], v4, v4, 1.0
	v_rcp_f32_e32 v6, v5
	s_nop 0
	v_fma_f32 v7, -v5, v6, 1.0
	v_fmac_f32_e32 v6, v7, v6
	v_div_scale_f32 v7, vcc, 1.0, v4, 1.0
	v_mul_f32_e32 v9, v7, v6
	v_fma_f32 v10, -v5, v9, v7
	v_fmac_f32_e32 v9, v10, v6
	v_fma_f32 v5, -v5, v9, v7
	v_div_fmas_f32 v5, v5, v6, v9
	v_div_fixup_f32 v6, v5, v4, 1.0
	v_mul_f32_e64 v7, v3, -v6
.LBB26_38:
	s_or_b64 exec, exec, s[14:15]
	ds_write_b64 v1, v[6:7]
.LBB26_39:
	s_andn2_saveexec_b64 s[6:7], s[6:7]
; %bb.40:
	v_mov_b32_e32 v4, 1.0
	v_mov_b32_e32 v5, 0
	ds_write_b64 v1, v[4:5]
; %bb.41:
	s_or_b64 exec, exec, s[6:7]
	s_mov_b64 s[6:7], 0
.LBB26_42:
	s_andn2_b64 vcc, exec, s[6:7]
	s_cbranch_vccnz .LBB26_44
; %bb.43:
	v_mov_b32_e32 v4, 1.0
	v_mov_b32_e32 v5, 0
	ds_write_b64 v1, v[4:5]
.LBB26_44:
	s_or_b64 exec, exec, s[10:11]
	s_waitcnt lgkmcnt(0)
	s_barrier
	s_and_saveexec_b64 s[6:7], s[2:3]
	s_cbranch_execz .LBB26_56
; %bb.45:
	s_add_i32 s9, s28, 1
	v_lshlrev_b32_e32 v4, 3, v2
	v_mul_i32_i24_e32 v3, s9, v2
	s_lshl_b32 s9, s28, 3
	v_add_u32_e32 v1, v8, v4
	v_lshl_add_u32 v3, v3, 3, v8
	v_add3_u32 v5, v4, s9, v8
	v_add_u32_e32 v6, 8, v8
	s_add_i32 s14, s9, 8
	s_mov_b32 s15, 0
	s_branch .LBB26_47
.LBB26_46:                              ;   in Loop: Header=BB26_47 Depth=1
	v_add_u32_e32 v5, s9, v5
	s_cmp_eq_u32 s15, s28
	v_add_u32_e32 v6, s14, v6
	s_cbranch_scc1 .LBB26_56
.LBB26_47:                              ; =>This Loop Header: Depth=1
                                        ;     Child Loop BB26_52 Depth 2
	v_cmp_lt_i32_e32 vcc, s15, v2
	v_mov_b32_e32 v7, 0
	s_mul_i32 s16, s15, s28
	v_mov_b32_e32 v4, 0
	s_and_saveexec_b64 s[10:11], vcc
	s_cbranch_execz .LBB26_49
; %bb.48:                               ;   in Loop: Header=BB26_47 Depth=1
	s_lshl_b32 s17, s16, 3
	s_lshl_b32 s18, s15, 3
	v_add_u32_e32 v4, s17, v1
	s_add_i32 s17, s17, s18
	v_add_u32_e32 v7, s17, v8
	ds_read_b64 v[10:11], v4
	ds_read_b64 v[12:13], v7
	s_waitcnt lgkmcnt(0)
	v_mul_f32_e32 v4, v13, v11
	v_mul_f32_e32 v9, v12, v11
	v_fma_f32 v4, v12, v10, -v4
	v_fmac_f32_e32 v9, v13, v10
	v_add_f32_e32 v7, 0, v4
	v_add_f32_e32 v4, 0, v9
.LBB26_49:                              ;   in Loop: Header=BB26_47 Depth=1
	s_or_b64 exec, exec, s[10:11]
	s_add_i32 s15, s15, 1
	s_cmp_ge_u32 s15, s28
	s_cbranch_scc1 .LBB26_46
; %bb.50:                               ;   in Loop: Header=BB26_47 Depth=1
	v_lshl_add_u32 v9, s16, 3, v1
	v_mov_b32_e32 v10, v6
	v_mov_b32_e32 v11, v5
	s_mov_b32 s16, s15
	s_branch .LBB26_52
.LBB26_51:                              ;   in Loop: Header=BB26_52 Depth=2
	s_or_b64 exec, exec, s[10:11]
	s_add_i32 s16, s16, 1
	v_add_u32_e32 v11, s9, v11
	s_cmp_eq_u32 s28, s16
	v_add_u32_e32 v10, 8, v10
	s_cbranch_scc1 .LBB26_46
.LBB26_52:                              ;   Parent Loop BB26_47 Depth=1
                                        ; =>  This Inner Loop Header: Depth=2
	v_cmp_eq_u32_e32 vcc, s16, v2
	s_and_saveexec_b64 s[10:11], vcc
	s_cbranch_execz .LBB26_54
; %bb.53:                               ;   in Loop: Header=BB26_52 Depth=2
	ds_read_b64 v[12:13], v3
	v_sub_f32_e32 v14, 0, v7
	s_waitcnt lgkmcnt(0)
	v_pk_mul_f32 v[16:17], v[4:5], v[12:13] op_sel:[0,1] op_sel_hi:[0,0]
	v_pk_fma_f32 v[18:19], v[14:15], v[12:13], v[16:17]
	v_pk_fma_f32 v[12:13], v[14:15], v[12:13], v[16:17] op_sel_hi:[0,1,1] neg_lo:[0,0,1] neg_hi:[0,0,1]
	v_mov_b32_e32 v19, v13
	ds_write_b64 v9, v[18:19]
.LBB26_54:                              ;   in Loop: Header=BB26_52 Depth=2
	s_or_b64 exec, exec, s[10:11]
	v_cmp_lt_i32_e32 vcc, s16, v2
	s_and_saveexec_b64 s[10:11], vcc
	s_cbranch_execz .LBB26_51
; %bb.55:                               ;   in Loop: Header=BB26_52 Depth=2
	ds_read_b64 v[12:13], v11
	ds_read_b64 v[14:15], v10
	s_waitcnt lgkmcnt(0)
	v_mul_f32_e32 v16, v15, v13
	v_mul_f32_e32 v13, v14, v13
	v_fma_f32 v14, v14, v12, -v16
	v_fmac_f32_e32 v13, v15, v12
	v_add_f32_e32 v7, v7, v14
	v_add_f32_e32 v4, v4, v13
	s_branch .LBB26_51
.LBB26_56:
	s_or_b64 exec, exec, s[6:7]
	s_and_b32 s6, s28, 0xffff
	v_cvt_f32_u32_e32 v1, s6
	v_cvt_f32_ubyte0_e32 v3, v0
	s_cmpk_lg_i32 s8, 0x7a
	s_cselect_b64 s[8:9], -1, 0
	v_rcp_iflag_f32_e32 v4, v1
	s_mul_i32 s6, s28, s28
	v_cmp_gt_u32_e64 s[6:7], s6, v0
	s_waitcnt lgkmcnt(0)
	v_mul_f32_e32 v4, v3, v4
	v_trunc_f32_e32 v4, v4
	v_cvt_u32_f32_e32 v5, v4
	v_fma_f32 v3, -v4, v1, v3
	v_cmp_ge_f32_e64 vcc, |v3|, v1
	s_barrier
	s_nop 0
	v_addc_co_u32_e32 v1, vcc, 0, v5, vcc
	v_and_b32_e32 v6, 0xffff, v1
	v_mul_lo_u16_e32 v1, s28, v1
	v_sub_u16_e32 v3, v0, v1
	s_and_b64 vcc, exec, s[8:9]
	s_cbranch_vccz .LBB26_62
; %bb.57:
	s_mov_b64 s[14:15], 0
	s_mov_b64 s[10:11], 0
                                        ; implicit-def: $vgpr0
                                        ; implicit-def: $vgpr1
	s_and_saveexec_b64 s[16:17], s[6:7]
	s_cbranch_execz .LBB26_61
; %bb.58:
	v_lshlrev_b32_e32 v1, 7, v6
	v_lshlrev_b32_e32 v4, 3, v3
	v_sub_u32_e32 v5, 0x1ff8, v1
	v_mov_b32_e32 v0, 0
	s_mov_b32 s18, -1
	v_mov_b32_e32 v7, 0
.LBB26_59:                              ; =>This Inner Loop Header: Depth=1
	ds_read_b64 v[10:11], v4
	ds_read_b64 v[12:13], v5
	s_add_i32 s18, s18, 1
	v_cmp_ge_u32_e32 vcc, s18, v6
	v_add_u32_e32 v5, -8, v5
	v_add_u32_e32 v4, 0x80, v4
	s_waitcnt lgkmcnt(0)
	v_mul_f32_e32 v9, v13, v11
	v_mul_f32_e32 v11, v12, v11
	v_fma_f32 v9, v12, v10, -v9
	v_fmac_f32_e32 v11, v13, v10
	s_or_b64 s[10:11], vcc, s[10:11]
	v_add_f32_e32 v7, v7, v9
	v_add_f32_e32 v0, v0, v11
	s_andn2_b64 exec, exec, s[10:11]
	s_cbranch_execnz .LBB26_59
; %bb.60:
	s_or_b64 exec, exec, s[10:11]
	v_lshl_add_u32 v4, v3, 3, v1
	s_mov_b64 s[10:11], exec
	v_add_u32_e32 v1, 0x800, v4
	ds_write_b32 v4, v7 offset:2048
.LBB26_61:
	s_or_b64 exec, exec, s[16:17]
	s_and_b64 vcc, exec, s[14:15]
	s_cbranch_vccnz .LBB26_63
	s_branch .LBB26_72
.LBB26_62:
	s_mov_b64 s[10:11], 0
                                        ; implicit-def: $vgpr0
                                        ; implicit-def: $vgpr1
	s_cbranch_execz .LBB26_72
.LBB26_63:
                                        ; implicit-def: $vgpr0
                                        ; implicit-def: $vgpr1
	s_and_saveexec_b64 s[14:15], s[6:7]
	s_cbranch_execz .LBB26_71
; %bb.64:
	v_cmp_lt_u16_e32 vcc, 15, v6
	v_lshlrev_b32_e32 v1, 7, v6
	s_and_saveexec_b64 s[16:17], vcc
	s_xor_b64 s[16:17], exec, s[16:17]
; %bb.65:
	v_lshlrev_b32_e32 v1, 7, v6
; %bb.66:
	s_or_saveexec_b64 s[16:17], s[16:17]
	v_mov_b32_e32 v0, 0
	v_mov_b32_e32 v4, 0
	s_xor_b64 exec, exec, s[16:17]
	s_cbranch_execz .LBB26_70
; %bb.67:
	s_movk_i32 s18, 0x88
	v_mov_b32_e32 v0, 0x1000
	v_add_u32_e32 v5, -1, v6
	v_mad_u32_u24 v7, v6, s18, v0
	v_lshl_add_u32 v9, v3, 3, v1
	v_mov_b32_e32 v0, 0
	s_mov_b64 s[18:19], 0
	v_mov_b32_e32 v4, 0
.LBB26_68:                              ; =>This Inner Loop Header: Depth=1
	ds_read_b64 v[10:11], v9
	ds_read_b64 v[12:13], v7
	v_add_u32_e32 v5, 1, v5
	v_cmp_lt_u32_e32 vcc, 14, v5
	v_add_u32_e32 v7, 8, v7
	v_add_u32_e32 v9, 0x80, v9
	s_waitcnt lgkmcnt(0)
	v_mul_f32_e32 v14, v13, v11
	v_mul_f32_e32 v11, v12, v11
	v_fma_f32 v12, v12, v10, -v14
	v_fmac_f32_e32 v11, v13, v10
	s_or_b64 s[18:19], vcc, s[18:19]
	v_add_f32_e32 v4, v4, v12
	v_add_f32_e32 v0, v0, v11
	s_andn2_b64 exec, exec, s[18:19]
	s_cbranch_execnz .LBB26_68
; %bb.69:
	s_or_b64 exec, exec, s[18:19]
.LBB26_70:
	s_or_b64 exec, exec, s[16:17]
	v_lshl_add_u32 v5, v3, 3, v1
	v_add_u32_e32 v1, 0x800, v5
	ds_write_b32 v5, v4 offset:2048
	s_or_b64 s[10:11], s[10:11], exec
.LBB26_71:
	s_or_b64 exec, exec, s[14:15]
.LBB26_72:
	s_and_saveexec_b64 s[14:15], s[10:11]
; %bb.73:
	ds_write_b32 v1, v0 offset:4
; %bb.74:
	s_or_b64 exec, exec, s[14:15]
	s_load_dword s10, s[0:1], 0x48
	s_load_dwordx2 s[18:19], s[0:1], 0x58
	s_lshl_b64 s[14:15], s[20:21], 3
	s_waitcnt lgkmcnt(0)
	s_barrier
	s_ashr_i32 s11, s10, 31
	s_add_u32 s20, s12, s14
	s_addc_u32 s21, s13, s15
	s_lshl_b64 s[0:1], s[10:11], 5
	s_add_u32 s0, s0, 32
	s_addc_u32 s1, s1, 0
	s_mul_hi_u32 s16, s0, s31
	s_mul_i32 s1, s1, s31
	s_add_i32 s1, s16, s1
	s_mul_i32 s0, s0, s31
	s_lshl_b64 s[16:17], s[0:1], 3
	s_add_u32 s20, s20, s16
	s_mul_i32 s0, s19, s30
	s_mul_hi_u32 s1, s18, s30
	s_addc_u32 s21, s21, s17
	s_add_i32 s1, s1, s0
	s_mul_i32 s0, s18, s30
	s_lshl_b64 s[18:19], s[0:1], 3
	s_add_u32 s0, s20, s18
	s_addc_u32 s1, s21, s19
	s_and_b64 vcc, exec, s[8:9]
	s_cbranch_vccz .LBB26_80
; %bb.75:
	s_mov_b64 s[22:23], 0
	s_mov_b64 s[20:21], 0
                                        ; implicit-def: $vgpr1
                                        ; implicit-def: $vgpr4_vgpr5
	s_and_saveexec_b64 s[24:25], s[6:7]
	s_cbranch_execz .LBB26_79
; %bb.76:
	v_mul_u32_u24_e32 v0, s28, v6
	v_lshlrev_b32_e32 v0, 3, v0
	v_lshlrev_b32_e32 v4, 3, v3
	s_movk_i32 s20, 0x800
	v_add3_u32 v7, v0, v4, s20
	s_lshl_b32 s20, s28, 3
	v_sub_u32_e32 v0, s20, v4
	v_mul_i32_i24_e32 v0, s28, v0
	v_sub_u32_e32 v0, v0, v4
	v_add_u32_e32 v9, 0xff8, v0
	v_mov_b32_e32 v0, 0
	v_add_u32_e32 v5, -1, v3
	s_sub_i32 s26, 0, s20
	s_mov_b64 s[20:21], 0
	v_mov_b32_e32 v1, v0
.LBB26_77:                              ; =>This Inner Loop Header: Depth=1
	ds_read_b64 v[10:11], v9
	ds_read_b64 v[12:13], v7
	v_add_u32_e32 v5, 1, v5
	v_cmp_lt_u32_e32 vcc, 14, v5
	v_add_u32_e32 v7, 8, v7
	v_add_u32_e32 v9, s26, v9
	s_waitcnt lgkmcnt(0)
	v_pk_mul_f32 v[14:15], v[12:13], v[10:11] op_sel:[0,1] neg_lo:[0,1]
	s_or_b64 s[20:21], vcc, s[20:21]
	v_pk_fma_f32 v[10:11], v[10:11], v[12:13], v[14:15] op_sel:[0,0,1] op_sel_hi:[0,1,0] neg_lo:[1,0,0] neg_hi:[1,0,0]
	v_pk_add_f32 v[0:1], v[0:1], v[10:11]
	s_andn2_b64 exec, exec, s[20:21]
	s_cbranch_execnz .LBB26_77
; %bb.78:
	s_or_b64 exec, exec, s[20:21]
	s_mul_hi_i32 s27, s28, s10
	s_mul_i32 s26, s28, s10
	s_lshl_b64 s[26:27], s[26:27], 3
	s_add_u32 s26, s0, s26
	s_addc_u32 s27, s1, s27
	v_mov_b32_e32 v5, 0
	v_mad_i64_i32 v[10:11], s[30:31], v6, s10, 0
	v_lshl_add_u64 v[4:5], s[26:27], 0, v[4:5]
	s_mov_b64 s[20:21], exec
	v_lshl_add_u64 v[4:5], v[10:11], 3, v[4:5]
	flat_store_dword v[4:5], v0
.LBB26_79:
	s_or_b64 exec, exec, s[24:25]
	s_and_b64 vcc, exec, s[22:23]
	s_cbranch_vccnz .LBB26_81
	s_branch .LBB26_86
.LBB26_80:
	s_mov_b64 s[20:21], 0
                                        ; implicit-def: $vgpr1
                                        ; implicit-def: $vgpr4_vgpr5
	s_cbranch_execz .LBB26_86
.LBB26_81:
                                        ; implicit-def: $vgpr1
                                        ; implicit-def: $vgpr4_vgpr5
	s_and_saveexec_b64 s[22:23], s[6:7]
	s_cbranch_execz .LBB26_85
; %bb.82:
	v_mov_b32_e32 v0, 0x1800
	v_lshl_add_u32 v4, v3, 3, v0
	v_mul_u32_u24_e32 v0, s28, v6
	v_mov_b32_e32 v1, 0x800
	v_lshl_add_u32 v5, v0, 3, v1
	v_mov_b32_e32 v0, 0
	s_lshl_b32 s24, s28, 3
	s_mov_b32 s25, -1
	s_mov_b64 s[6:7], 0
	v_mov_b32_e32 v1, v0
.LBB26_83:                              ; =>This Inner Loop Header: Depth=1
	ds_read_b64 v[10:11], v4
	ds_read_b64 v[12:13], v5
	s_add_i32 s25, s25, 1
	v_cmp_ge_u32_e32 vcc, s25, v3
	v_add_u32_e32 v5, 8, v5
	v_add_u32_e32 v4, s24, v4
	s_waitcnt lgkmcnt(0)
	v_pk_mul_f32 v[14:15], v[12:13], v[10:11] op_sel:[0,1] neg_lo:[0,1]
	s_or_b64 s[6:7], vcc, s[6:7]
	v_pk_fma_f32 v[10:11], v[10:11], v[12:13], v[14:15] op_sel:[0,0,1] op_sel_hi:[0,1,0] neg_lo:[1,0,0] neg_hi:[1,0,0]
	v_pk_add_f32 v[0:1], v[0:1], v[10:11]
	s_andn2_b64 exec, exec, s[6:7]
	s_cbranch_execnz .LBB26_83
; %bb.84:
	s_or_b64 exec, exec, s[6:7]
	v_mad_i64_i32 v[4:5], s[6:7], v6, s10, 0
	v_lshl_add_u64 v[4:5], v[4:5], 3, s[0:1]
	v_add_lshl_u32 v6, s28, v3, 3
	v_mov_b32_e32 v7, 0
	v_lshl_add_u64 v[4:5], v[4:5], 0, v[6:7]
	s_or_b64 s[20:21], s[20:21], exec
	flat_store_dword v[4:5], v0
.LBB26_85:
	s_or_b64 exec, exec, s[22:23]
.LBB26_86:
	s_and_saveexec_b64 s[6:7], s[20:21]
	s_cbranch_execz .LBB26_88
; %bb.87:
	flat_store_dword v[4:5], v1 offset:4
.LBB26_88:
	s_or_b64 exec, exec, s[6:7]
	s_and_saveexec_b64 s[6:7], s[2:3]
	s_cbranch_execz .LBB26_100
; %bb.89:
	v_mov_b64_e32 v[0:1], 0
	s_and_saveexec_b64 s[2:3], s[4:5]
	s_cbranch_execnz .LBB26_92
; %bb.90:
	s_or_b64 exec, exec, s[2:3]
	s_mov_b64 s[2:3], -1
	s_and_b64 vcc, exec, s[8:9]
	s_cbranch_vccnz .LBB26_93
.LBB26_91:
	s_andn2_b64 vcc, exec, s[2:3]
	s_cbranch_vccz .LBB26_97
	s_branch .LBB26_100
.LBB26_92:
	s_add_u32 s4, s10, 1
	s_addc_u32 s5, s11, 0
	s_mul_i32 s5, s5, s28
	s_mul_hi_u32 s6, s4, s28
	s_add_i32 s5, s6, s5
	s_mul_i32 s4, s4, s28
	v_mov_b64_e32 v[0:1], s[4:5]
	s_or_b64 exec, exec, s[2:3]
	s_mov_b64 s[2:3], -1
	s_and_b64 vcc, exec, s[8:9]
	s_cbranch_vccz .LBB26_91
.LBB26_93:
	v_cmp_gt_i32_e32 vcc, s28, v2
	s_and_saveexec_b64 s[2:3], vcc
	s_cbranch_execz .LBB26_96
; %bb.94:
	s_cmp_lt_u32 s29, 16
	s_cselect_b32 s5, s29, 16
	s_cselect_b32 s4, 0, 0
	s_add_u32 s6, s5, -1
	s_addc_u32 s4, s4, -1
	s_mul_i32 s5, s6, s11
	s_mul_hi_u32 s7, s6, s10
	s_add_i32 s5, s7, s5
	s_mul_i32 s4, s4, s10
	s_add_i32 s5, s5, s4
	s_mul_i32 s4, s6, s10
	s_lshl_b64 s[4:5], s[4:5], 3
	s_add_u32 s4, s4, s18
	s_addc_u32 s5, s5, s19
	s_add_u32 s4, s4, s16
	s_addc_u32 s5, s5, s17
	s_add_u32 s4, s14, s4
	v_xad_u32 v3, v2, -1, s28
	s_addc_u32 s5, s15, s5
	v_lshl_add_u32 v6, v3, 3, v8
	v_ashrrev_i32_e32 v3, 31, v2
	v_lshl_add_u64 v[4:5], v[0:1], 3, s[4:5]
	s_lshl_b64 s[6:7], s[10:11], 3
	v_lshl_add_u64 v[4:5], v[2:3], 3, v[4:5]
	s_sub_u32 s6, 0, s6
	v_lshl_add_u64 v[4:5], s[12:13], 0, v[4:5]
	s_mov_b64 s[4:5], 0
	s_subb_u32 s7, 0, s7
	s_lshl_b32 s8, s28, 3
	s_mov_b32 s9, s28
.LBB26_95:                              ; =>This Inner Loop Header: Depth=1
	ds_read_b64 v[10:11], v6
	s_add_i32 s9, s9, -1
	v_cmp_le_i32_e32 vcc, s9, v2
	v_add_u32_e32 v6, s8, v6
	s_or_b64 s[4:5], vcc, s[4:5]
	s_waitcnt lgkmcnt(0)
	flat_store_dwordx2 v[4:5], v[10:11]
	v_lshl_add_u64 v[4:5], v[4:5], 0, s[6:7]
	s_andn2_b64 exec, exec, s[4:5]
	s_cbranch_execnz .LBB26_95
.LBB26_96:
	s_or_b64 exec, exec, s[2:3]
	s_cbranch_execnz .LBB26_100
.LBB26_97:
	v_cmp_lt_i32_e32 vcc, -1, v2
	s_and_b64 exec, exec, vcc
	s_cbranch_execz .LBB26_100
; %bb.98:
	v_mov_b32_e32 v3, 0
	v_lshl_add_u64 v[0:1], v[0:1], 3, s[0:1]
	v_lshl_add_u32 v4, v2, 3, v8
	v_lshl_add_u64 v[0:1], v[2:3], 3, v[0:1]
	v_add_u32_e32 v2, 1, v2
	s_lshl_b64 s[0:1], s[10:11], 3
	s_lshl_b32 s4, s28, 3
	s_mov_b64 s[2:3], 0
.LBB26_99:                              ; =>This Inner Loop Header: Depth=1
	ds_read_b64 v[6:7], v4
	v_add_u32_e32 v2, -1, v2
	v_cmp_eq_u32_e32 vcc, 0, v2
	v_add_u32_e32 v4, s4, v4
	s_or_b64 s[2:3], vcc, s[2:3]
	s_waitcnt lgkmcnt(0)
	flat_store_dwordx2 v[0:1], v[6:7]
	v_lshl_add_u64 v[0:1], v[0:1], 0, s[0:1]
	s_andn2_b64 exec, exec, s[2:3]
	s_cbranch_execnz .LBB26_99
.LBB26_100:
	s_endpgm
	.section	.rodata,"a",@progbits
	.p2align	6, 0x0
	.amdhsa_kernel _ZL29rocblas_trtri_diagonal_kernelILi16E19rocblas_complex_numIfEPKPKS1_PKPS1_Ev13rocblas_fill_17rocblas_diagonal_iT1_lillT2_lilli
		.amdhsa_group_segment_fixed_size 8192
		.amdhsa_private_segment_fixed_size 0
		.amdhsa_kernarg_size 100
		.amdhsa_user_sgpr_count 2
		.amdhsa_user_sgpr_dispatch_ptr 0
		.amdhsa_user_sgpr_queue_ptr 0
		.amdhsa_user_sgpr_kernarg_segment_ptr 1
		.amdhsa_user_sgpr_dispatch_id 0
		.amdhsa_user_sgpr_kernarg_preload_length 0
		.amdhsa_user_sgpr_kernarg_preload_offset 0
		.amdhsa_user_sgpr_private_segment_size 0
		.amdhsa_uses_dynamic_stack 0
		.amdhsa_enable_private_segment 0
		.amdhsa_system_sgpr_workgroup_id_x 1
		.amdhsa_system_sgpr_workgroup_id_y 0
		.amdhsa_system_sgpr_workgroup_id_z 1
		.amdhsa_system_sgpr_workgroup_info 0
		.amdhsa_system_vgpr_workitem_id 0
		.amdhsa_next_free_vgpr 20
		.amdhsa_next_free_sgpr 40
		.amdhsa_accum_offset 20
		.amdhsa_reserve_vcc 1
		.amdhsa_float_round_mode_32 0
		.amdhsa_float_round_mode_16_64 0
		.amdhsa_float_denorm_mode_32 3
		.amdhsa_float_denorm_mode_16_64 3
		.amdhsa_dx10_clamp 1
		.amdhsa_ieee_mode 1
		.amdhsa_fp16_overflow 0
		.amdhsa_tg_split 0
		.amdhsa_exception_fp_ieee_invalid_op 0
		.amdhsa_exception_fp_denorm_src 0
		.amdhsa_exception_fp_ieee_div_zero 0
		.amdhsa_exception_fp_ieee_overflow 0
		.amdhsa_exception_fp_ieee_underflow 0
		.amdhsa_exception_fp_ieee_inexact 0
		.amdhsa_exception_int_div_zero 0
	.end_amdhsa_kernel
	.section	.text._ZL29rocblas_trtri_diagonal_kernelILi16E19rocblas_complex_numIfEPKPKS1_PKPS1_Ev13rocblas_fill_17rocblas_diagonal_iT1_lillT2_lilli,"axG",@progbits,_ZL29rocblas_trtri_diagonal_kernelILi16E19rocblas_complex_numIfEPKPKS1_PKPS1_Ev13rocblas_fill_17rocblas_diagonal_iT1_lillT2_lilli,comdat
.Lfunc_end26:
	.size	_ZL29rocblas_trtri_diagonal_kernelILi16E19rocblas_complex_numIfEPKPKS1_PKPS1_Ev13rocblas_fill_17rocblas_diagonal_iT1_lillT2_lilli, .Lfunc_end26-_ZL29rocblas_trtri_diagonal_kernelILi16E19rocblas_complex_numIfEPKPKS1_PKPS1_Ev13rocblas_fill_17rocblas_diagonal_iT1_lillT2_lilli
                                        ; -- End function
	.set _ZL29rocblas_trtri_diagonal_kernelILi16E19rocblas_complex_numIfEPKPKS1_PKPS1_Ev13rocblas_fill_17rocblas_diagonal_iT1_lillT2_lilli.num_vgpr, 20
	.set _ZL29rocblas_trtri_diagonal_kernelILi16E19rocblas_complex_numIfEPKPKS1_PKPS1_Ev13rocblas_fill_17rocblas_diagonal_iT1_lillT2_lilli.num_agpr, 0
	.set _ZL29rocblas_trtri_diagonal_kernelILi16E19rocblas_complex_numIfEPKPKS1_PKPS1_Ev13rocblas_fill_17rocblas_diagonal_iT1_lillT2_lilli.numbered_sgpr, 40
	.set _ZL29rocblas_trtri_diagonal_kernelILi16E19rocblas_complex_numIfEPKPKS1_PKPS1_Ev13rocblas_fill_17rocblas_diagonal_iT1_lillT2_lilli.num_named_barrier, 0
	.set _ZL29rocblas_trtri_diagonal_kernelILi16E19rocblas_complex_numIfEPKPKS1_PKPS1_Ev13rocblas_fill_17rocblas_diagonal_iT1_lillT2_lilli.private_seg_size, 0
	.set _ZL29rocblas_trtri_diagonal_kernelILi16E19rocblas_complex_numIfEPKPKS1_PKPS1_Ev13rocblas_fill_17rocblas_diagonal_iT1_lillT2_lilli.uses_vcc, 1
	.set _ZL29rocblas_trtri_diagonal_kernelILi16E19rocblas_complex_numIfEPKPKS1_PKPS1_Ev13rocblas_fill_17rocblas_diagonal_iT1_lillT2_lilli.uses_flat_scratch, 0
	.set _ZL29rocblas_trtri_diagonal_kernelILi16E19rocblas_complex_numIfEPKPKS1_PKPS1_Ev13rocblas_fill_17rocblas_diagonal_iT1_lillT2_lilli.has_dyn_sized_stack, 0
	.set _ZL29rocblas_trtri_diagonal_kernelILi16E19rocblas_complex_numIfEPKPKS1_PKPS1_Ev13rocblas_fill_17rocblas_diagonal_iT1_lillT2_lilli.has_recursion, 0
	.set _ZL29rocblas_trtri_diagonal_kernelILi16E19rocblas_complex_numIfEPKPKS1_PKPS1_Ev13rocblas_fill_17rocblas_diagonal_iT1_lillT2_lilli.has_indirect_call, 0
	.section	.AMDGPU.csdata,"",@progbits
; Kernel info:
; codeLenInByte = 3576
; TotalNumSgprs: 46
; NumVgprs: 20
; NumAgprs: 0
; TotalNumVgprs: 20
; ScratchSize: 0
; MemoryBound: 0
; FloatMode: 240
; IeeeMode: 1
; LDSByteSize: 8192 bytes/workgroup (compile time only)
; SGPRBlocks: 5
; VGPRBlocks: 2
; NumSGPRsForWavesPerEU: 46
; NumVGPRsForWavesPerEU: 20
; AccumOffset: 20
; Occupancy: 8
; WaveLimiterHint : 1
; COMPUTE_PGM_RSRC2:SCRATCH_EN: 0
; COMPUTE_PGM_RSRC2:USER_SGPR: 2
; COMPUTE_PGM_RSRC2:TRAP_HANDLER: 0
; COMPUTE_PGM_RSRC2:TGID_X_EN: 1
; COMPUTE_PGM_RSRC2:TGID_Y_EN: 0
; COMPUTE_PGM_RSRC2:TGID_Z_EN: 1
; COMPUTE_PGM_RSRC2:TIDIG_COMP_CNT: 0
; COMPUTE_PGM_RSRC3_GFX90A:ACCUM_OFFSET: 4
; COMPUTE_PGM_RSRC3_GFX90A:TG_SPLIT: 0
	.section	.text._ZL30rocblas_trtri_remainder_kernelILi16E19rocblas_complex_numIfEPKPKS1_PKPS1_Ev13rocblas_fill_17rocblas_diagonal_iT1_lillT2_lilli,"axG",@progbits,_ZL30rocblas_trtri_remainder_kernelILi16E19rocblas_complex_numIfEPKPKS1_PKPS1_Ev13rocblas_fill_17rocblas_diagonal_iT1_lillT2_lilli,comdat
	.globl	_ZL30rocblas_trtri_remainder_kernelILi16E19rocblas_complex_numIfEPKPKS1_PKPS1_Ev13rocblas_fill_17rocblas_diagonal_iT1_lillT2_lilli ; -- Begin function _ZL30rocblas_trtri_remainder_kernelILi16E19rocblas_complex_numIfEPKPKS1_PKPS1_Ev13rocblas_fill_17rocblas_diagonal_iT1_lillT2_lilli
	.p2align	8
	.type	_ZL30rocblas_trtri_remainder_kernelILi16E19rocblas_complex_numIfEPKPKS1_PKPS1_Ev13rocblas_fill_17rocblas_diagonal_iT1_lillT2_lilli,@function
_ZL30rocblas_trtri_remainder_kernelILi16E19rocblas_complex_numIfEPKPKS1_PKPS1_Ev13rocblas_fill_17rocblas_diagonal_iT1_lillT2_lilli: ; @_ZL30rocblas_trtri_remainder_kernelILi16E19rocblas_complex_numIfEPKPKS1_PKPS1_Ev13rocblas_fill_17rocblas_diagonal_iT1_lillT2_lilli
; %bb.0:
	s_load_dwordx4 s[8:11], s[0:1], 0x0
	s_waitcnt lgkmcnt(0)
	s_cmp_lt_i32 s10, 1
	s_cbranch_scc1 .LBB27_43
; %bb.1:
	s_load_dwordx4 s[16:19], s[0:1], 0x30
	s_load_dwordx2 s[20:21], s[0:1], 0x40
	s_mov_b32 s4, s3
	s_mov_b32 s5, 0
	s_lshl_b64 s[26:27], s[4:5], 3
	s_waitcnt lgkmcnt(0)
	s_add_u32 s4, s18, s26
	s_addc_u32 s5, s19, s27
	s_load_dwordx2 s[18:19], s[4:5], 0x0
	v_cmp_le_u32_e64 s[4:5], s10, v0
	v_cmp_gt_u32_e64 s[6:7], s10, v0
	s_and_saveexec_b64 s[22:23], s[6:7]
	s_cbranch_execz .LBB27_9
; %bb.2:
	s_load_dwordx4 s[12:15], s[0:1], 0x10
	s_load_dword s24, s[0:1], 0x20
	s_mul_i32 s3, s17, s2
	s_mul_hi_u32 s11, s16, s2
	s_mul_i32 s16, s16, s2
	s_waitcnt lgkmcnt(0)
	s_add_u32 s12, s12, s26
	s_addc_u32 s13, s13, s27
	s_load_dwordx2 s[12:13], s[12:13], 0x0
	s_add_i32 s17, s11, s3
	s_cmpk_lg_i32 s8, 0x7a
	s_mov_b64 s[26:27], -1
	s_cbranch_scc0 .LBB27_6
; %bb.3:
	s_add_i32 s11, s10, -1
	s_ashr_i32 s25, s24, 31
	s_mul_i32 s28, s25, s11
	s_mul_hi_u32 s29, s24, s11
	s_add_i32 s29, s29, s28
	s_mul_i32 s28, s24, s11
	s_lshl_b32 s3, s10, 3
	s_lshl_b64 s[26:27], s[16:17], 3
	s_lshl_b64 s[28:29], s[28:29], 3
	v_sub_u32_e32 v1, s11, v0
	s_add_u32 s11, s26, s28
	s_addc_u32 s28, s27, s29
	s_lshl_b64 s[26:27], s[14:15], 3
	s_add_u32 s11, s11, s26
	s_addc_u32 s27, s28, s27
	s_waitcnt lgkmcnt(0)
	s_add_u32 s26, s12, s11
	s_addc_u32 s27, s13, s27
	s_lshl_b64 s[28:29], s[24:25], 3
	v_lshlrev_b32_e32 v2, 3, v0
	v_mov_b32_e32 v3, 0
	s_sub_u32 s28, 0, s28
	v_lshlrev_b32_e32 v1, 3, v1
	v_lshl_add_u64 v[2:3], s[26:27], 0, v[2:3]
	s_mov_b64 s[26:27], 0
	s_subb_u32 s29, 0, s29
	s_mov_b32 s11, s10
.LBB27_4:                               ; =>This Inner Loop Header: Depth=1
	flat_load_dwordx2 v[4:5], v[2:3]
	s_add_i32 s11, s11, -1
	v_cmp_le_u32_e32 vcc, s11, v0
	v_lshl_add_u64 v[2:3], v[2:3], 0, s[28:29]
	s_or_b64 s[26:27], vcc, s[26:27]
	s_waitcnt vmcnt(0) lgkmcnt(0)
	ds_write_b64 v1, v[4:5]
	v_add_u32_e32 v1, s3, v1
	s_andn2_b64 exec, exec, s[26:27]
	s_cbranch_execnz .LBB27_4
; %bb.5:
	s_or_b64 exec, exec, s[26:27]
	s_mov_b64 s[26:27], 0
.LBB27_6:
	s_and_b64 vcc, exec, s[26:27]
	s_cbranch_vccz .LBB27_9
; %bb.7:
	s_lshl_b64 s[14:15], s[14:15], 3
	s_waitcnt lgkmcnt(0)
	s_add_u32 s3, s12, s14
	s_addc_u32 s11, s13, s15
	s_lshl_b64 s[12:13], s[16:17], 3
	s_add_u32 s12, s3, s12
	s_addc_u32 s13, s11, s13
	s_ashr_i32 s25, s24, 31
	v_lshlrev_b32_e32 v2, 3, v0
	v_mov_b32_e32 v3, 0
	v_lshl_add_u64 v[4:5], s[12:13], 0, v[2:3]
	v_add_u32_e32 v1, 1, v0
	s_lshl_b32 s3, s10, 3
	s_lshl_b64 s[12:13], s[24:25], 3
	s_mov_b64 s[14:15], 0
.LBB27_8:                               ; =>This Inner Loop Header: Depth=1
	flat_load_dwordx2 v[6:7], v[4:5]
	v_add_u32_e32 v1, -1, v1
	v_cmp_eq_u32_e32 vcc, 0, v1
	v_lshl_add_u64 v[4:5], v[4:5], 0, s[12:13]
	s_or_b64 s[14:15], vcc, s[14:15]
	s_waitcnt vmcnt(0) lgkmcnt(0)
	ds_write_b64 v2, v[6:7]
	v_add_u32_e32 v2, s3, v2
	s_andn2_b64 exec, exec, s[14:15]
	s_cbranch_execnz .LBB27_8
.LBB27_9:
	s_or_b64 exec, exec, s[22:23]
	s_waitcnt lgkmcnt(0)
	s_barrier
                                        ; implicit-def: $vgpr2
	s_and_saveexec_b64 s[12:13], s[4:5]
	s_xor_b64 s[4:5], exec, s[12:13]
; %bb.10:
	v_mad_u64_u32 v[2:3], s[12:13], v0, s10, v[0:1]
; %bb.11:
	s_andn2_saveexec_b64 s[12:13], s[4:5]
	s_cbranch_execz .LBB27_24
; %bb.12:
	v_mad_u64_u32 v[2:3], s[4:5], v0, s10, v[0:1]
	s_cmpk_lg_i32 s9, 0x84
	v_lshlrev_b32_e32 v1, 3, v2
	s_mov_b64 s[4:5], -1
	s_cbranch_scc0 .LBB27_22
; %bb.13:
	ds_read_b64 v[4:5], v1
	s_waitcnt lgkmcnt(0)
	v_cmp_neq_f32_e32 vcc, 0, v4
	v_cmp_neq_f32_e64 s[4:5], 0, v5
	s_or_b64 s[4:5], vcc, s[4:5]
	s_and_saveexec_b64 s[14:15], s[4:5]
	s_xor_b64 s[4:5], exec, s[14:15]
	s_cbranch_execz .LBB27_19
; %bb.14:
	v_cmp_ngt_f32_e64 s[14:15], |v4|, |v5|
                                        ; implicit-def: $vgpr6_vgpr7
	s_and_saveexec_b64 s[16:17], s[14:15]
	s_xor_b64 s[14:15], exec, s[16:17]
	s_cbranch_execz .LBB27_16
; %bb.15:
	v_div_scale_f32 v3, s[16:17], v5, v5, v4
	v_rcp_f32_e32 v6, v3
	v_div_scale_f32 v7, vcc, v4, v5, v4
	v_fma_f32 v8, -v3, v6, 1.0
	v_fmac_f32_e32 v6, v8, v6
	v_mul_f32_e32 v8, v7, v6
	v_fma_f32 v9, -v3, v8, v7
	v_fmac_f32_e32 v8, v9, v6
	v_fma_f32 v3, -v3, v8, v7
	v_div_fmas_f32 v3, v3, v6, v8
	v_div_fixup_f32 v3, v3, v5, v4
	v_fmac_f32_e32 v5, v4, v3
	v_div_scale_f32 v4, s[16:17], v5, v5, 1.0
	v_rcp_f32_e32 v6, v4
	s_nop 0
	v_fma_f32 v7, -v4, v6, 1.0
	v_fmac_f32_e32 v6, v7, v6
	v_div_scale_f32 v7, vcc, 1.0, v5, 1.0
	v_mul_f32_e32 v8, v7, v6
	v_fma_f32 v9, -v4, v8, v7
	v_fmac_f32_e32 v8, v9, v6
	v_fma_f32 v4, -v4, v8, v7
	v_div_fmas_f32 v4, v4, v6, v8
	v_div_fixup_f32 v4, v4, v5, 1.0
	v_mul_f32_e32 v6, v3, v4
	v_xor_b32_e32 v7, 0x80000000, v4
                                        ; implicit-def: $vgpr4_vgpr5
.LBB27_16:
	s_andn2_saveexec_b64 s[14:15], s[14:15]
	s_cbranch_execz .LBB27_18
; %bb.17:
	v_div_scale_f32 v3, s[16:17], v4, v4, v5
	v_rcp_f32_e32 v6, v3
	v_div_scale_f32 v7, vcc, v5, v4, v5
	v_fma_f32 v8, -v3, v6, 1.0
	v_fmac_f32_e32 v6, v8, v6
	v_mul_f32_e32 v8, v7, v6
	v_fma_f32 v9, -v3, v8, v7
	v_fmac_f32_e32 v8, v9, v6
	v_fma_f32 v3, -v3, v8, v7
	v_div_fmas_f32 v3, v3, v6, v8
	v_div_fixup_f32 v3, v3, v4, v5
	v_fmac_f32_e32 v4, v5, v3
	v_div_scale_f32 v5, s[16:17], v4, v4, 1.0
	v_rcp_f32_e32 v6, v5
	s_nop 0
	v_fma_f32 v7, -v5, v6, 1.0
	v_fmac_f32_e32 v6, v7, v6
	v_div_scale_f32 v7, vcc, 1.0, v4, 1.0
	v_mul_f32_e32 v8, v7, v6
	v_fma_f32 v9, -v5, v8, v7
	v_fmac_f32_e32 v8, v9, v6
	v_fma_f32 v5, -v5, v8, v7
	v_div_fmas_f32 v5, v5, v6, v8
	v_div_fixup_f32 v6, v5, v4, 1.0
	v_mul_f32_e64 v7, v3, -v6
.LBB27_18:
	s_or_b64 exec, exec, s[14:15]
	ds_write_b64 v1, v[6:7]
.LBB27_19:
	s_andn2_saveexec_b64 s[4:5], s[4:5]
; %bb.20:
	v_mov_b32_e32 v4, 1.0
	v_mov_b32_e32 v5, 0
	ds_write_b64 v1, v[4:5]
; %bb.21:
	s_or_b64 exec, exec, s[4:5]
	s_mov_b64 s[4:5], 0
.LBB27_22:
	s_andn2_b64 vcc, exec, s[4:5]
	s_cbranch_vccnz .LBB27_24
; %bb.23:
	v_mov_b32_e32 v4, 1.0
	v_mov_b32_e32 v5, 0
	ds_write_b64 v1, v[4:5]
.LBB27_24:
	s_or_b64 exec, exec, s[12:13]
	v_lshlrev_b32_e32 v1, 3, v0
	s_lshl_b32 s9, s10, 3
	v_lshlrev_b32_e32 v3, 3, v2
	v_add_u32_e32 v4, s9, v1
	s_mov_b32 s3, 8
	s_add_i32 s11, s9, 8
	s_mov_b32 s12, 0
	s_waitcnt lgkmcnt(0)
	s_barrier
	s_branch .LBB27_26
.LBB27_25:                              ;   in Loop: Header=BB27_26 Depth=1
	s_add_i32 s3, s3, s11
	s_cmp_eq_u32 s12, s10
	v_add_u32_e32 v4, s9, v4
	s_barrier
	s_cbranch_scc1 .LBB27_35
.LBB27_26:                              ; =>This Loop Header: Depth=1
                                        ;     Child Loop BB27_31 Depth 2
	v_cmp_lt_u32_e32 vcc, s12, v0
	v_mov_b32_e32 v5, 0
	s_mul_i32 s13, s12, s10
	v_mov_b32_e32 v2, 0
	s_and_saveexec_b64 s[4:5], vcc
	s_cbranch_execz .LBB27_28
; %bb.27:                               ;   in Loop: Header=BB27_26 Depth=1
	s_lshl_b32 s14, s13, 3
	s_lshl_b32 s15, s12, 3
	v_add_u32_e32 v2, s14, v1
	s_add_i32 s14, s15, s14
	v_mov_b32_e32 v5, s14
	ds_read_b64 v[6:7], v2
	ds_read_b64 v[8:9], v5
	s_waitcnt lgkmcnt(0)
	v_mul_f32_e32 v2, v9, v7
	v_mul_f32_e32 v7, v8, v7
	v_fma_f32 v2, v8, v6, -v2
	v_fmac_f32_e32 v7, v9, v6
	v_add_f32_e32 v5, 0, v2
	v_add_f32_e32 v2, 0, v7
.LBB27_28:                              ;   in Loop: Header=BB27_26 Depth=1
	s_or_b64 exec, exec, s[4:5]
	s_add_i32 s12, s12, 1
	s_cmp_ge_i32 s12, s10
	s_barrier
	s_cbranch_scc1 .LBB27_25
; %bb.29:                               ;   in Loop: Header=BB27_26 Depth=1
	v_lshl_add_u32 v6, s13, 3, v1
	s_mov_b32 s13, s3
	v_mov_b32_e32 v7, v4
	s_mov_b32 s14, s12
	s_branch .LBB27_31
.LBB27_30:                              ;   in Loop: Header=BB27_31 Depth=2
	s_or_b64 exec, exec, s[4:5]
	s_add_i32 s14, s14, 1
	s_add_i32 s13, s13, 8
	s_cmp_eq_u32 s10, s14
	v_add_u32_e32 v7, s9, v7
	s_barrier
	s_cbranch_scc1 .LBB27_25
.LBB27_31:                              ;   Parent Loop BB27_26 Depth=1
                                        ; =>  This Inner Loop Header: Depth=2
	v_cmp_eq_u32_e32 vcc, s14, v0
	s_and_saveexec_b64 s[4:5], vcc
	s_cbranch_execz .LBB27_33
; %bb.32:                               ;   in Loop: Header=BB27_31 Depth=2
	ds_read_b64 v[8:9], v3
	v_sub_f32_e32 v10, 0, v5
	s_waitcnt lgkmcnt(0)
	v_pk_mul_f32 v[12:13], v[2:3], v[8:9] op_sel:[0,1] op_sel_hi:[0,0]
	v_pk_fma_f32 v[14:15], v[10:11], v[8:9], v[12:13]
	v_pk_fma_f32 v[8:9], v[10:11], v[8:9], v[12:13] op_sel_hi:[0,1,1] neg_lo:[0,0,1] neg_hi:[0,0,1]
	v_mov_b32_e32 v15, v9
	ds_write_b64 v6, v[14:15]
.LBB27_33:                              ;   in Loop: Header=BB27_31 Depth=2
	s_or_b64 exec, exec, s[4:5]
	v_cmp_lt_u32_e32 vcc, s14, v0
	s_waitcnt lgkmcnt(0)
	s_barrier
	s_and_saveexec_b64 s[4:5], vcc
	s_cbranch_execz .LBB27_30
; %bb.34:                               ;   in Loop: Header=BB27_31 Depth=2
	v_mov_b32_e32 v10, s13
	ds_read_b64 v[8:9], v7
	ds_read_b64 v[10:11], v10
	s_waitcnt lgkmcnt(0)
	v_mul_f32_e32 v12, v11, v9
	v_mul_f32_e32 v9, v10, v9
	v_fma_f32 v10, v10, v8, -v12
	v_fmac_f32_e32 v9, v11, v8
	v_add_f32_e32 v5, v5, v10
	v_add_f32_e32 v2, v2, v9
	s_branch .LBB27_30
.LBB27_35:
	s_and_saveexec_b64 s[4:5], s[6:7]
	s_cbranch_execz .LBB27_43
; %bb.36:
	s_load_dwordx2 s[6:7], s[0:1], 0x58
	s_load_dword s4, s[0:1], 0x48
	s_waitcnt lgkmcnt(0)
	s_mul_i32 s0, s7, s2
	s_mul_hi_u32 s1, s6, s2
	s_add_i32 s1, s1, s0
	s_mul_i32 s0, s6, s2
	s_cmpk_lg_i32 s8, 0x7a
	s_mov_b64 s[2:3], -1
	s_cbranch_scc0 .LBB27_40
; %bb.37:
	s_add_i32 s6, s10, -1
	s_ashr_i32 s5, s4, 31
	s_mul_i32 s7, s5, s6
	s_mul_hi_u32 s8, s4, s6
	v_sub_u32_e32 v2, s6, v0
	s_add_i32 s7, s8, s7
	s_mul_i32 s6, s4, s6
	s_lshl_b64 s[2:3], s[0:1], 3
	s_lshl_b64 s[6:7], s[6:7], 3
	s_add_u32 s6, s2, s6
	s_addc_u32 s7, s3, s7
	s_lshl_b64 s[2:3], s[20:21], 3
	s_add_u32 s2, s6, s2
	s_addc_u32 s3, s7, s3
	s_add_u32 s2, s18, s2
	s_addc_u32 s3, s19, s3
	s_lshl_b64 s[6:7], s[4:5], 3
	v_lshlrev_b32_e32 v4, 3, v2
	v_lshlrev_b32_e32 v2, 3, v0
	v_mov_b32_e32 v3, 0
	s_sub_u32 s6, 0, s6
	v_lshl_add_u64 v[2:3], s[2:3], 0, v[2:3]
	s_mov_b64 s[2:3], 0
	s_subb_u32 s7, 0, s7
.LBB27_38:                              ; =>This Inner Loop Header: Depth=1
	ds_read_b64 v[6:7], v4
	s_add_i32 s10, s10, -1
	v_cmp_le_u32_e32 vcc, s10, v0
	v_add_u32_e32 v4, s9, v4
	s_or_b64 s[2:3], vcc, s[2:3]
	s_waitcnt lgkmcnt(0)
	flat_store_dwordx2 v[2:3], v[6:7]
	v_lshl_add_u64 v[2:3], v[2:3], 0, s[6:7]
	s_andn2_b64 exec, exec, s[2:3]
	s_cbranch_execnz .LBB27_38
; %bb.39:
	s_or_b64 exec, exec, s[2:3]
	s_mov_b64 s[2:3], 0
.LBB27_40:
	s_and_b64 vcc, exec, s[2:3]
	s_cbranch_vccz .LBB27_43
; %bb.41:
	s_lshl_b64 s[2:3], s[20:21], 3
	s_add_u32 s2, s18, s2
	s_addc_u32 s3, s19, s3
	s_lshl_b64 s[0:1], s[0:1], 3
	s_add_u32 s0, s2, s0
	s_addc_u32 s1, s3, s1
	s_ashr_i32 s5, s4, 31
	v_lshlrev_b32_e32 v2, 3, v0
	v_mov_b32_e32 v3, 0
	v_lshl_add_u64 v[2:3], s[0:1], 0, v[2:3]
	v_add_u32_e32 v0, 1, v0
	s_lshl_b64 s[0:1], s[4:5], 3
	s_mov_b64 s[2:3], 0
.LBB27_42:                              ; =>This Inner Loop Header: Depth=1
	ds_read_b64 v[4:5], v1
	v_add_u32_e32 v0, -1, v0
	v_cmp_eq_u32_e32 vcc, 0, v0
	v_add_u32_e32 v1, s9, v1
	s_or_b64 s[2:3], vcc, s[2:3]
	s_waitcnt lgkmcnt(0)
	flat_store_dwordx2 v[2:3], v[4:5]
	v_lshl_add_u64 v[2:3], v[2:3], 0, s[0:1]
	s_andn2_b64 exec, exec, s[2:3]
	s_cbranch_execnz .LBB27_42
.LBB27_43:
	s_endpgm
	.section	.rodata,"a",@progbits
	.p2align	6, 0x0
	.amdhsa_kernel _ZL30rocblas_trtri_remainder_kernelILi16E19rocblas_complex_numIfEPKPKS1_PKPS1_Ev13rocblas_fill_17rocblas_diagonal_iT1_lillT2_lilli
		.amdhsa_group_segment_fixed_size 8192
		.amdhsa_private_segment_fixed_size 0
		.amdhsa_kernarg_size 100
		.amdhsa_user_sgpr_count 2
		.amdhsa_user_sgpr_dispatch_ptr 0
		.amdhsa_user_sgpr_queue_ptr 0
		.amdhsa_user_sgpr_kernarg_segment_ptr 1
		.amdhsa_user_sgpr_dispatch_id 0
		.amdhsa_user_sgpr_kernarg_preload_length 0
		.amdhsa_user_sgpr_kernarg_preload_offset 0
		.amdhsa_user_sgpr_private_segment_size 0
		.amdhsa_uses_dynamic_stack 0
		.amdhsa_enable_private_segment 0
		.amdhsa_system_sgpr_workgroup_id_x 1
		.amdhsa_system_sgpr_workgroup_id_y 0
		.amdhsa_system_sgpr_workgroup_id_z 1
		.amdhsa_system_sgpr_workgroup_info 0
		.amdhsa_system_vgpr_workitem_id 0
		.amdhsa_next_free_vgpr 16
		.amdhsa_next_free_sgpr 30
		.amdhsa_accum_offset 16
		.amdhsa_reserve_vcc 1
		.amdhsa_float_round_mode_32 0
		.amdhsa_float_round_mode_16_64 0
		.amdhsa_float_denorm_mode_32 3
		.amdhsa_float_denorm_mode_16_64 3
		.amdhsa_dx10_clamp 1
		.amdhsa_ieee_mode 1
		.amdhsa_fp16_overflow 0
		.amdhsa_tg_split 0
		.amdhsa_exception_fp_ieee_invalid_op 0
		.amdhsa_exception_fp_denorm_src 0
		.amdhsa_exception_fp_ieee_div_zero 0
		.amdhsa_exception_fp_ieee_overflow 0
		.amdhsa_exception_fp_ieee_underflow 0
		.amdhsa_exception_fp_ieee_inexact 0
		.amdhsa_exception_int_div_zero 0
	.end_amdhsa_kernel
	.section	.text._ZL30rocblas_trtri_remainder_kernelILi16E19rocblas_complex_numIfEPKPKS1_PKPS1_Ev13rocblas_fill_17rocblas_diagonal_iT1_lillT2_lilli,"axG",@progbits,_ZL30rocblas_trtri_remainder_kernelILi16E19rocblas_complex_numIfEPKPKS1_PKPS1_Ev13rocblas_fill_17rocblas_diagonal_iT1_lillT2_lilli,comdat
.Lfunc_end27:
	.size	_ZL30rocblas_trtri_remainder_kernelILi16E19rocblas_complex_numIfEPKPKS1_PKPS1_Ev13rocblas_fill_17rocblas_diagonal_iT1_lillT2_lilli, .Lfunc_end27-_ZL30rocblas_trtri_remainder_kernelILi16E19rocblas_complex_numIfEPKPKS1_PKPS1_Ev13rocblas_fill_17rocblas_diagonal_iT1_lillT2_lilli
                                        ; -- End function
	.set _ZL30rocblas_trtri_remainder_kernelILi16E19rocblas_complex_numIfEPKPKS1_PKPS1_Ev13rocblas_fill_17rocblas_diagonal_iT1_lillT2_lilli.num_vgpr, 16
	.set _ZL30rocblas_trtri_remainder_kernelILi16E19rocblas_complex_numIfEPKPKS1_PKPS1_Ev13rocblas_fill_17rocblas_diagonal_iT1_lillT2_lilli.num_agpr, 0
	.set _ZL30rocblas_trtri_remainder_kernelILi16E19rocblas_complex_numIfEPKPKS1_PKPS1_Ev13rocblas_fill_17rocblas_diagonal_iT1_lillT2_lilli.numbered_sgpr, 30
	.set _ZL30rocblas_trtri_remainder_kernelILi16E19rocblas_complex_numIfEPKPKS1_PKPS1_Ev13rocblas_fill_17rocblas_diagonal_iT1_lillT2_lilli.num_named_barrier, 0
	.set _ZL30rocblas_trtri_remainder_kernelILi16E19rocblas_complex_numIfEPKPKS1_PKPS1_Ev13rocblas_fill_17rocblas_diagonal_iT1_lillT2_lilli.private_seg_size, 0
	.set _ZL30rocblas_trtri_remainder_kernelILi16E19rocblas_complex_numIfEPKPKS1_PKPS1_Ev13rocblas_fill_17rocblas_diagonal_iT1_lillT2_lilli.uses_vcc, 1
	.set _ZL30rocblas_trtri_remainder_kernelILi16E19rocblas_complex_numIfEPKPKS1_PKPS1_Ev13rocblas_fill_17rocblas_diagonal_iT1_lillT2_lilli.uses_flat_scratch, 0
	.set _ZL30rocblas_trtri_remainder_kernelILi16E19rocblas_complex_numIfEPKPKS1_PKPS1_Ev13rocblas_fill_17rocblas_diagonal_iT1_lillT2_lilli.has_dyn_sized_stack, 0
	.set _ZL30rocblas_trtri_remainder_kernelILi16E19rocblas_complex_numIfEPKPKS1_PKPS1_Ev13rocblas_fill_17rocblas_diagonal_iT1_lillT2_lilli.has_recursion, 0
	.set _ZL30rocblas_trtri_remainder_kernelILi16E19rocblas_complex_numIfEPKPKS1_PKPS1_Ev13rocblas_fill_17rocblas_diagonal_iT1_lillT2_lilli.has_indirect_call, 0
	.section	.AMDGPU.csdata,"",@progbits
; Kernel info:
; codeLenInByte = 1676
; TotalNumSgprs: 36
; NumVgprs: 16
; NumAgprs: 0
; TotalNumVgprs: 16
; ScratchSize: 0
; MemoryBound: 0
; FloatMode: 240
; IeeeMode: 1
; LDSByteSize: 8192 bytes/workgroup (compile time only)
; SGPRBlocks: 4
; VGPRBlocks: 1
; NumSGPRsForWavesPerEU: 36
; NumVGPRsForWavesPerEU: 16
; AccumOffset: 16
; Occupancy: 8
; WaveLimiterHint : 0
; COMPUTE_PGM_RSRC2:SCRATCH_EN: 0
; COMPUTE_PGM_RSRC2:USER_SGPR: 2
; COMPUTE_PGM_RSRC2:TRAP_HANDLER: 0
; COMPUTE_PGM_RSRC2:TGID_X_EN: 1
; COMPUTE_PGM_RSRC2:TGID_Y_EN: 0
; COMPUTE_PGM_RSRC2:TGID_Z_EN: 1
; COMPUTE_PGM_RSRC2:TIDIG_COMP_CNT: 0
; COMPUTE_PGM_RSRC3_GFX90A:ACCUM_OFFSET: 3
; COMPUTE_PGM_RSRC3_GFX90A:TG_SPLIT: 0
	.section	.text._ZL18rocblas_trtri_fillILi128E19rocblas_complex_numIdEPKPS1_EvP15_rocblas_handle13rocblas_fill_ililT1_llii,"axG",@progbits,_ZL18rocblas_trtri_fillILi128E19rocblas_complex_numIdEPKPS1_EvP15_rocblas_handle13rocblas_fill_ililT1_llii,comdat
	.globl	_ZL18rocblas_trtri_fillILi128E19rocblas_complex_numIdEPKPS1_EvP15_rocblas_handle13rocblas_fill_ililT1_llii ; -- Begin function _ZL18rocblas_trtri_fillILi128E19rocblas_complex_numIdEPKPS1_EvP15_rocblas_handle13rocblas_fill_ililT1_llii
	.p2align	8
	.type	_ZL18rocblas_trtri_fillILi128E19rocblas_complex_numIdEPKPS1_EvP15_rocblas_handle13rocblas_fill_ililT1_llii,@function
_ZL18rocblas_trtri_fillILi128E19rocblas_complex_numIdEPKPS1_EvP15_rocblas_handle13rocblas_fill_ililT1_llii: ; @_ZL18rocblas_trtri_fillILi128E19rocblas_complex_numIdEPKPS1_EvP15_rocblas_handle13rocblas_fill_ililT1_llii
; %bb.0:
	s_mov_b32 s12, s3
	s_load_dword s3, s[0:1], 0x40
	s_load_dwordx2 s[8:9], s[0:1], 0x10
	s_waitcnt lgkmcnt(0)
	s_ashr_i32 s4, s3, 31
	s_mul_hi_u32 s5, s8, s3
	s_mul_i32 s4, s8, s4
	s_add_i32 s4, s5, s4
	s_mul_i32 s5, s9, s3
	s_mul_i32 s10, s8, s3
	s_mov_b32 s3, 0
	s_add_i32 s11, s4, s5
	s_lshl_b64 s[4:5], s[2:3], 7
	v_or_b32_e32 v0, s4, v0
	v_mov_b32_e32 v1, s5
	v_cmp_gt_u64_e32 vcc, s[10:11], v[0:1]
	s_and_saveexec_b64 s[4:5], vcc
	s_cbranch_execz .LBB28_16
; %bb.1:
	s_load_dword s2, s[0:1], 0x18
	s_load_dwordx4 s[4:7], s[0:1], 0x20
	s_load_dwordx2 s[14:15], s[0:1], 0x30
	s_mov_b32 s13, s3
	s_lshl_b64 s[12:13], s[12:13], 3
	s_waitcnt lgkmcnt(0)
	s_ashr_i32 s3, s2, 31
	s_add_u32 s12, s6, s12
	v_cvt_f32_u32_e32 v4, s8
	v_cvt_f32_u32_e32 v5, s9
	s_addc_u32 s13, s7, s13
	s_load_dwordx2 s[16:17], s[12:13], 0x0
	s_load_dwordx2 s[6:7], s[0:1], 0x8
	s_lshl_b64 s[12:13], s[14:15], 4
	v_fmamk_f32 v4, v5, 0x4f800000, v4
	v_rcp_f32_e32 v5, v4
	v_cvt_f32_u32_e32 v6, s8
	s_waitcnt lgkmcnt(0)
	s_add_u32 s12, s16, s12
	s_addc_u32 s13, s17, s13
	s_add_i32 s14, s7, -2
	v_cvt_f64_i32_e32 v[2:3], s14
	s_add_i32 s14, s7, -1
	s_mul_hi_i32 s15, s14, s7
	s_mul_i32 s14, s14, s7
	v_mul_f32_e32 v5, 0x5f7ffffc, v5
	v_rcp_iflag_f32_e32 v6, v6
	s_ashr_i32 s24, s7, 31
	s_lshl_b64 s[16:17], s[14:15], 2
	v_mul_f32_e32 v7, 0x2f800000, v5
	s_mov_b32 s25, s7
	s_add_u32 s7, s16, -7
	s_load_dword s16, s[0:1], 0x48
	s_load_dword s18, s[0:1], 0x54
	v_trunc_f32_e32 v7, v7
	v_fmamk_f32 v5, v7, 0xcf800000, v5
	v_cvt_u32_f32_e32 v14, v5
	v_mul_f32_e32 v5, 0x4f7ffffe, v6
	v_cvt_u32_f32_e32 v15, v7
	v_cvt_u32_f32_e32 v16, v5
	s_addc_u32 s26, s17, -1
	s_waitcnt lgkmcnt(0)
	s_and_b32 s0, s18, 0xffff
	v_mov_b32_e32 v4, 0
	s_mov_b32 s20, 0
	s_lshr_b64 s[14:15], s[14:15], 1
	s_mul_hi_u32 s17, s0, s16
	s_mul_i32 s16, s0, s16
	s_mov_b64 s[18:19], 0
	s_brev_b32 s21, 8
	v_mov_b32_e32 v17, 0x260
	s_movk_i32 s27, 0xffe0
	v_mov_b32_e32 v18, 0x100
	v_mov_b32_e32 v19, 0xffffff80
	;; [unrolled: 1-line block ×4, first 2 shown]
	s_branch .LBB28_3
.LBB28_2:                               ;   in Loop: Header=BB28_3 Depth=1
	v_lshl_add_u64 v[0:1], v[0:1], 0, s[16:17]
	v_cmp_le_u64_e32 vcc, s[10:11], v[0:1]
	s_or_b64 s[18:19], vcc, s[18:19]
	s_andn2_b64 exec, exec, s[18:19]
	s_cbranch_execz .LBB28_16
.LBB28_3:                               ; =>This Inner Loop Header: Depth=1
	v_or_b32_e32 v5, s9, v1
	v_cmp_ne_u64_e32 vcc, 0, v[4:5]
                                        ; implicit-def: $vgpr8_vgpr9
	s_and_saveexec_b64 s[0:1], vcc
	s_xor_b64 s[22:23], exec, s[0:1]
	s_cbranch_execz .LBB28_5
; %bb.4:                                ;   in Loop: Header=BB28_3 Depth=1
	s_sub_u32 s28, 0, s8
	v_readfirstlane_b32 s0, v14
	v_readfirstlane_b32 s31, v15
	s_subb_u32 s29, 0, s9
	s_mul_hi_u32 s30, s28, s0
	s_mul_i32 s33, s28, s31
	s_mul_i32 s1, s29, s0
	s_add_i32 s30, s30, s33
	s_add_i32 s30, s30, s1
	s_mul_i32 s34, s28, s0
	s_mul_i32 s33, s0, s30
	s_mul_hi_u32 s35, s0, s34
	s_mul_hi_u32 s1, s0, s30
	s_add_u32 s33, s35, s33
	s_addc_u32 s1, 0, s1
	s_mul_hi_u32 s36, s31, s34
	s_mul_i32 s34, s31, s34
	s_add_u32 s33, s33, s34
	s_mul_hi_u32 s35, s31, s30
	s_addc_u32 s1, s1, s36
	s_addc_u32 s33, s35, 0
	s_mul_i32 s30, s31, s30
	s_add_u32 s1, s1, s30
	s_addc_u32 s30, 0, s33
	s_add_u32 s33, s0, s1
	s_cselect_b64 s[0:1], -1, 0
	s_cmp_lg_u64 s[0:1], 0
	s_addc_u32 s30, s31, s30
	s_mul_i32 s0, s28, s30
	s_mul_hi_u32 s1, s28, s33
	s_add_i32 s0, s1, s0
	s_mul_i32 s29, s29, s33
	s_add_i32 s0, s0, s29
	s_mul_i32 s28, s28, s33
	s_mul_hi_u32 s29, s30, s28
	s_mul_i32 s31, s30, s28
	s_mul_i32 s35, s33, s0
	s_mul_hi_u32 s28, s33, s28
	s_mul_hi_u32 s34, s33, s0
	s_add_u32 s28, s28, s35
	s_addc_u32 s34, 0, s34
	s_add_u32 s28, s28, s31
	s_mul_hi_u32 s1, s30, s0
	s_addc_u32 s28, s34, s29
	s_addc_u32 s1, s1, 0
	s_mul_i32 s0, s30, s0
	s_add_u32 s0, s28, s0
	s_addc_u32 s28, 0, s1
	s_add_u32 s29, s33, s0
	s_cselect_b64 s[0:1], -1, 0
	s_cmp_lg_u64 s[0:1], 0
	s_addc_u32 s28, s30, s28
	v_mad_u64_u32 v[8:9], s[0:1], v0, s28, 0
	v_mul_hi_u32 v10, v0, s29
	v_mov_b32_e32 v11, v4
	v_lshl_add_u64 v[8:9], v[10:11], 0, v[8:9]
	v_mad_u64_u32 v[12:13], s[0:1], v1, s29, 0
	v_add_co_u32_e32 v5, vcc, v8, v12
	v_mad_u64_u32 v[10:11], s[0:1], v1, s28, 0
	s_nop 0
	v_addc_co_u32_e32 v8, vcc, v9, v13, vcc
	v_mov_b32_e32 v9, v4
	s_nop 0
	v_addc_co_u32_e32 v11, vcc, 0, v11, vcc
	v_lshl_add_u64 v[8:9], v[8:9], 0, v[10:11]
	v_mul_lo_u32 v5, s9, v8
	v_mul_lo_u32 v12, s8, v9
	v_mad_u64_u32 v[10:11], s[0:1], s8, v8, 0
	v_add3_u32 v5, v11, v12, v5
	v_sub_u32_e32 v11, v1, v5
	v_mov_b32_e32 v12, s9
	v_sub_co_u32_e32 v20, vcc, v0, v10
	s_nop 1
	v_subb_co_u32_e64 v10, s[0:1], v11, v12, vcc
	v_subrev_co_u32_e64 v11, s[0:1], s8, v20
	v_subb_co_u32_e32 v5, vcc, v1, v5, vcc
	s_nop 0
	v_subbrev_co_u32_e64 v10, s[0:1], 0, v10, s[0:1]
	v_cmp_le_u32_e64 s[0:1], s9, v10
	v_cmp_le_u32_e32 vcc, s9, v5
	s_nop 0
	v_cndmask_b32_e64 v12, 0, -1, s[0:1]
	v_cmp_le_u32_e64 s[0:1], s8, v11
	s_nop 1
	v_cndmask_b32_e64 v11, 0, -1, s[0:1]
	v_cmp_eq_u32_e64 s[0:1], s9, v10
	s_nop 1
	v_cndmask_b32_e64 v21, v12, v11, s[0:1]
	v_lshl_add_u64 v[10:11], v[8:9], 0, 2
	v_lshl_add_u64 v[12:13], v[8:9], 0, 1
	v_cmp_ne_u32_e64 s[0:1], 0, v21
	s_nop 1
	v_cndmask_b32_e64 v11, v13, v11, s[0:1]
	v_cndmask_b32_e64 v13, 0, -1, vcc
	v_cmp_le_u32_e32 vcc, s8, v20
	s_nop 1
	v_cndmask_b32_e64 v20, 0, -1, vcc
	v_cmp_eq_u32_e32 vcc, s9, v5
	s_nop 1
	v_cndmask_b32_e32 v5, v13, v20, vcc
	v_cmp_ne_u32_e32 vcc, 0, v5
	v_cndmask_b32_e64 v5, v12, v10, s[0:1]
	s_nop 0
	v_cndmask_b32_e32 v9, v9, v11, vcc
	v_cndmask_b32_e32 v8, v8, v5, vcc
.LBB28_5:                               ;   in Loop: Header=BB28_3 Depth=1
	s_andn2_saveexec_b64 s[0:1], s[22:23]
	s_cbranch_execz .LBB28_7
; %bb.6:                                ;   in Loop: Header=BB28_3 Depth=1
	s_sub_i32 s22, 0, s8
	v_mul_lo_u32 v5, s22, v16
	v_mul_hi_u32 v5, v16, v5
	v_add_u32_e32 v5, v16, v5
	v_mul_hi_u32 v5, v0, v5
	v_mul_lo_u32 v8, v5, s8
	v_sub_u32_e32 v8, v0, v8
	v_subrev_u32_e32 v9, s8, v8
	v_cmp_le_u32_e32 vcc, s8, v8
	s_nop 1
	v_cndmask_b32_e32 v8, v8, v9, vcc
	v_add_u32_e32 v9, 1, v5
	v_cndmask_b32_e32 v5, v5, v9, vcc
	v_add_u32_e32 v9, 1, v5
	v_cmp_le_u32_e32 vcc, s8, v8
	s_nop 1
	v_cndmask_b32_e32 v8, v5, v9, vcc
	v_mov_b32_e32 v9, v4
.LBB28_7:                               ;   in Loop: Header=BB28_3 Depth=1
	s_or_b64 exec, exec, s[0:1]
	v_mul_lo_u32 v5, v9, s8
	v_mul_lo_u32 v12, v8, s9
	v_mad_u64_u32 v[10:11], s[0:1], v8, s8, 0
	v_add3_u32 v5, v11, v12, v5
	v_sub_co_u32_e32 v10, vcc, v0, v10
	s_cmpk_lt_i32 s6, 0x7a
	s_nop 0
	v_subb_co_u32_e32 v11, vcc, v1, v5, vcc
	s_cbranch_scc1 .LBB28_10
; %bb.8:                                ;   in Loop: Header=BB28_3 Depth=1
	s_mov_b64 s[0:1], 0
	s_cmpk_eq_i32 s6, 0x7a
	s_mov_b64 s[22:23], 0
                                        ; implicit-def: $vgpr12_vgpr13
	s_cbranch_scc0 .LBB28_11
; %bb.9:                                ;   in Loop: Header=BB28_3 Depth=1
	v_lshlrev_b64 v[12:13], 3, v[10:11]
	v_mov_b32_e32 v5, s26
	v_sub_co_u32_e32 v20, vcc, s7, v12
	v_cvt_f64_u32_e32 v[20:21], v20
	s_nop 0
	v_subb_co_u32_e32 v5, vcc, v5, v13, vcc
	v_cvt_f64_u32_e32 v[12:13], v5
	v_ldexp_f64 v[12:13], v[12:13], 32
	v_add_f64 v[12:13], v[12:13], v[20:21]
	v_cmp_gt_f64_e32 vcc, s[20:21], v[12:13]
	s_nop 1
	v_cndmask_b32_e32 v5, 0, v18, vcc
	v_ldexp_f64 v[12:13], v[12:13], v5
	v_rsq_f64_e32 v[20:21], v[12:13]
	v_cndmask_b32_e32 v5, 0, v19, vcc
	v_cmp_class_f64_e32 vcc, v[12:13], v17
	v_mul_f64 v[22:23], v[12:13], v[20:21]
	v_mul_f64 v[20:21], v[20:21], 0.5
	v_fma_f64 v[24:25], -v[20:21], v[22:23], 0.5
	v_fmac_f64_e32 v[22:23], v[22:23], v[24:25]
	v_fma_f64 v[26:27], -v[22:23], v[22:23], v[12:13]
	v_fmac_f64_e32 v[20:21], v[20:21], v[24:25]
	v_fmac_f64_e32 v[22:23], v[26:27], v[20:21]
	v_fma_f64 v[24:25], -v[22:23], v[22:23], v[12:13]
	v_fmac_f64_e32 v[22:23], v[24:25], v[20:21]
	v_ldexp_f64 v[20:21], v[22:23], v5
	v_cndmask_b32_e32 v13, v21, v13, vcc
	v_cndmask_b32_e32 v12, v20, v12, vcc
	v_fma_f64 v[12:13], v[12:13], 0.5, -0.5
	v_floor_f64_e32 v[12:13], v[12:13]
	v_add_f64 v[12:13], v[2:3], -v[12:13]
	v_trunc_f64_e32 v[12:13], v[12:13]
	v_ldexp_f64 v[20:21], v[12:13], s27
	v_floor_f64_e32 v[20:21], v[20:21]
	v_fmac_f64_e32 v[12:13], 0xc1f00000, v[20:21]
	v_cvt_u32_f64_e32 v12, v[12:13]
	v_cvt_u32_f64_e32 v13, v[20:21]
	v_mov_b32_e32 v5, s15
	v_subrev_co_u32_e32 v20, vcc, s14, v10
	v_mul_lo_u32 v26, v8, s5
	s_nop 0
	v_subb_co_u32_e32 v21, vcc, v11, v5, vcc
	v_mov_b32_e32 v5, s24
	v_sub_co_u32_e32 v22, vcc, s25, v12
	v_mul_lo_u32 v28, v13, s2
	s_nop 0
	v_subb_co_u32_e32 v23, vcc, v5, v13, vcc
	v_lshl_add_u64 v[24:25], v[22:23], 0, -1
	v_mul_lo_u32 v5, v25, v22
	v_mul_lo_u32 v25, v24, v23
	v_mad_u64_u32 v[22:23], s[22:23], v24, v22, 0
	v_add3_u32 v23, v23, v25, v5
	v_mul_lo_u32 v5, v9, s4
	v_mad_u64_u32 v[24:25], s[22:23], v8, s4, 0
	v_add3_u32 v25, v25, v26, v5
	;; [unrolled: 3-line block ×3, first 2 shown]
	v_lshl_add_u64 v[24:25], v[24:25], 4, s[12:13]
	v_lshl_add_u64 v[24:25], v[26:27], 4, v[24:25]
	;; [unrolled: 1-line block ×4, first 2 shown]
	v_lshlrev_b64 v[20:21], 3, v[22:23]
	v_and_b32_e32 v20, -16, v20
	v_lshl_add_u64 v[20:21], v[12:13], 0, v[20:21]
	v_lshl_add_u64 v[12:13], v[20:21], 0, 16
	flat_store_dwordx2 v[20:21], v[6:7] offset:16
	s_mov_b64 s[22:23], -1
	s_branch .LBB28_11
.LBB28_10:                              ;   in Loop: Header=BB28_3 Depth=1
	s_mov_b64 s[0:1], -1
	s_mov_b64 s[22:23], 0
                                        ; implicit-def: $vgpr12_vgpr13
.LBB28_11:                              ;   in Loop: Header=BB28_3 Depth=1
	s_and_b64 vcc, exec, s[0:1]
	s_cbranch_vccz .LBB28_14
; %bb.12:                               ;   in Loop: Header=BB28_3 Depth=1
	s_cmpk_eq_i32 s6, 0x79
                                        ; implicit-def: $vgpr12_vgpr13
	s_cbranch_scc0 .LBB28_14
; %bb.13:                               ;   in Loop: Header=BB28_3 Depth=1
	v_lshlrev_b64 v[12:13], 3, v[10:11]
	v_or_b32_e32 v5, 1, v12
	v_cvt_f64_u32_e32 v[12:13], v13
	v_ldexp_f64 v[12:13], v[12:13], 32
	v_cvt_f64_u32_e32 v[20:21], v5
	v_add_f64 v[12:13], v[12:13], v[20:21]
	v_cmp_gt_f64_e32 vcc, s[20:21], v[12:13]
	s_mov_b64 s[22:23], -1
	s_nop 0
	v_cndmask_b32_e32 v5, 0, v18, vcc
	v_ldexp_f64 v[12:13], v[12:13], v5
	v_rsq_f64_e32 v[20:21], v[12:13]
	v_cndmask_b32_e32 v5, 0, v19, vcc
	v_cmp_class_f64_e32 vcc, v[12:13], v17
	v_mul_f64 v[22:23], v[12:13], v[20:21]
	v_mul_f64 v[20:21], v[20:21], 0.5
	v_fma_f64 v[24:25], -v[20:21], v[22:23], 0.5
	v_fmac_f64_e32 v[22:23], v[22:23], v[24:25]
	v_fma_f64 v[26:27], -v[22:23], v[22:23], v[12:13]
	v_fmac_f64_e32 v[20:21], v[20:21], v[24:25]
	v_fmac_f64_e32 v[22:23], v[26:27], v[20:21]
	v_fma_f64 v[24:25], -v[22:23], v[22:23], v[12:13]
	v_fmac_f64_e32 v[22:23], v[24:25], v[20:21]
	v_ldexp_f64 v[20:21], v[22:23], v5
	v_cndmask_b32_e32 v13, v21, v13, vcc
	v_cndmask_b32_e32 v12, v20, v12, vcc
	v_add_f64 v[12:13], v[12:13], -1.0
	v_mul_f64 v[12:13], v[12:13], 0.5
	v_trunc_f64_e32 v[12:13], v[12:13]
	v_ldexp_f64 v[20:21], v[12:13], s27
	v_floor_f64_e32 v[20:21], v[20:21]
	v_fmac_f64_e32 v[12:13], 0xc1f00000, v[20:21]
	v_cvt_u32_f64_e32 v12, v[12:13]
	v_cvt_u32_f64_e32 v13, v[20:21]
	v_mad_u64_u32 v[20:21], s[0:1], v12, v12, v[12:13]
	v_mul_lo_u32 v5, v12, v13
	v_add3_u32 v21, v5, v21, v5
	v_lshrrev_b64 v[20:21], 1, v[20:21]
	v_sub_co_u32_e32 v10, vcc, v10, v20
	v_mul_lo_u32 v5, v9, s4
	v_mul_lo_u32 v20, v8, s5
	v_mad_u64_u32 v[8:9], s[0:1], v8, s4, 0
	v_subb_co_u32_e32 v11, vcc, v11, v21, vcc
	v_add3_u32 v9, v9, v20, v5
	v_mov_b64_e32 v[20:21], s[2:3]
	v_mul_lo_u32 v5, s3, v12
	v_mad_u64_u32 v[20:21], s[0:1], s2, v12, v[20:21]
	v_mul_lo_u32 v12, s2, v13
	v_add3_u32 v21, v5, v21, v12
	v_lshl_add_u64 v[8:9], v[8:9], 4, s[12:13]
	v_lshl_add_u64 v[8:9], v[20:21], 4, v[8:9]
	;; [unrolled: 1-line block ×3, first 2 shown]
	flat_store_dwordx2 v[12:13], v[6:7]
.LBB28_14:                              ;   in Loop: Header=BB28_3 Depth=1
	s_and_b64 vcc, exec, s[22:23]
	s_cbranch_vccz .LBB28_2
; %bb.15:                               ;   in Loop: Header=BB28_3 Depth=1
	flat_store_dwordx2 v[12:13], v[6:7] offset:8
	s_branch .LBB28_2
.LBB28_16:
	s_endpgm
	.section	.rodata,"a",@progbits
	.p2align	6, 0x0
	.amdhsa_kernel _ZL18rocblas_trtri_fillILi128E19rocblas_complex_numIdEPKPS1_EvP15_rocblas_handle13rocblas_fill_ililT1_llii
		.amdhsa_group_segment_fixed_size 0
		.amdhsa_private_segment_fixed_size 0
		.amdhsa_kernarg_size 328
		.amdhsa_user_sgpr_count 2
		.amdhsa_user_sgpr_dispatch_ptr 0
		.amdhsa_user_sgpr_queue_ptr 0
		.amdhsa_user_sgpr_kernarg_segment_ptr 1
		.amdhsa_user_sgpr_dispatch_id 0
		.amdhsa_user_sgpr_kernarg_preload_length 0
		.amdhsa_user_sgpr_kernarg_preload_offset 0
		.amdhsa_user_sgpr_private_segment_size 0
		.amdhsa_uses_dynamic_stack 0
		.amdhsa_enable_private_segment 0
		.amdhsa_system_sgpr_workgroup_id_x 1
		.amdhsa_system_sgpr_workgroup_id_y 0
		.amdhsa_system_sgpr_workgroup_id_z 1
		.amdhsa_system_sgpr_workgroup_info 0
		.amdhsa_system_vgpr_workitem_id 0
		.amdhsa_next_free_vgpr 29
		.amdhsa_next_free_sgpr 37
		.amdhsa_accum_offset 32
		.amdhsa_reserve_vcc 1
		.amdhsa_float_round_mode_32 0
		.amdhsa_float_round_mode_16_64 0
		.amdhsa_float_denorm_mode_32 3
		.amdhsa_float_denorm_mode_16_64 3
		.amdhsa_dx10_clamp 1
		.amdhsa_ieee_mode 1
		.amdhsa_fp16_overflow 0
		.amdhsa_tg_split 0
		.amdhsa_exception_fp_ieee_invalid_op 0
		.amdhsa_exception_fp_denorm_src 0
		.amdhsa_exception_fp_ieee_div_zero 0
		.amdhsa_exception_fp_ieee_overflow 0
		.amdhsa_exception_fp_ieee_underflow 0
		.amdhsa_exception_fp_ieee_inexact 0
		.amdhsa_exception_int_div_zero 0
	.end_amdhsa_kernel
	.section	.text._ZL18rocblas_trtri_fillILi128E19rocblas_complex_numIdEPKPS1_EvP15_rocblas_handle13rocblas_fill_ililT1_llii,"axG",@progbits,_ZL18rocblas_trtri_fillILi128E19rocblas_complex_numIdEPKPS1_EvP15_rocblas_handle13rocblas_fill_ililT1_llii,comdat
.Lfunc_end28:
	.size	_ZL18rocblas_trtri_fillILi128E19rocblas_complex_numIdEPKPS1_EvP15_rocblas_handle13rocblas_fill_ililT1_llii, .Lfunc_end28-_ZL18rocblas_trtri_fillILi128E19rocblas_complex_numIdEPKPS1_EvP15_rocblas_handle13rocblas_fill_ililT1_llii
                                        ; -- End function
	.set _ZL18rocblas_trtri_fillILi128E19rocblas_complex_numIdEPKPS1_EvP15_rocblas_handle13rocblas_fill_ililT1_llii.num_vgpr, 29
	.set _ZL18rocblas_trtri_fillILi128E19rocblas_complex_numIdEPKPS1_EvP15_rocblas_handle13rocblas_fill_ililT1_llii.num_agpr, 0
	.set _ZL18rocblas_trtri_fillILi128E19rocblas_complex_numIdEPKPS1_EvP15_rocblas_handle13rocblas_fill_ililT1_llii.numbered_sgpr, 37
	.set _ZL18rocblas_trtri_fillILi128E19rocblas_complex_numIdEPKPS1_EvP15_rocblas_handle13rocblas_fill_ililT1_llii.num_named_barrier, 0
	.set _ZL18rocblas_trtri_fillILi128E19rocblas_complex_numIdEPKPS1_EvP15_rocblas_handle13rocblas_fill_ililT1_llii.private_seg_size, 0
	.set _ZL18rocblas_trtri_fillILi128E19rocblas_complex_numIdEPKPS1_EvP15_rocblas_handle13rocblas_fill_ililT1_llii.uses_vcc, 1
	.set _ZL18rocblas_trtri_fillILi128E19rocblas_complex_numIdEPKPS1_EvP15_rocblas_handle13rocblas_fill_ililT1_llii.uses_flat_scratch, 0
	.set _ZL18rocblas_trtri_fillILi128E19rocblas_complex_numIdEPKPS1_EvP15_rocblas_handle13rocblas_fill_ililT1_llii.has_dyn_sized_stack, 0
	.set _ZL18rocblas_trtri_fillILi128E19rocblas_complex_numIdEPKPS1_EvP15_rocblas_handle13rocblas_fill_ililT1_llii.has_recursion, 0
	.set _ZL18rocblas_trtri_fillILi128E19rocblas_complex_numIdEPKPS1_EvP15_rocblas_handle13rocblas_fill_ililT1_llii.has_indirect_call, 0
	.section	.AMDGPU.csdata,"",@progbits
; Kernel info:
; codeLenInByte = 1904
; TotalNumSgprs: 43
; NumVgprs: 29
; NumAgprs: 0
; TotalNumVgprs: 29
; ScratchSize: 0
; MemoryBound: 0
; FloatMode: 240
; IeeeMode: 1
; LDSByteSize: 0 bytes/workgroup (compile time only)
; SGPRBlocks: 5
; VGPRBlocks: 3
; NumSGPRsForWavesPerEU: 43
; NumVGPRsForWavesPerEU: 29
; AccumOffset: 32
; Occupancy: 8
; WaveLimiterHint : 1
; COMPUTE_PGM_RSRC2:SCRATCH_EN: 0
; COMPUTE_PGM_RSRC2:USER_SGPR: 2
; COMPUTE_PGM_RSRC2:TRAP_HANDLER: 0
; COMPUTE_PGM_RSRC2:TGID_X_EN: 1
; COMPUTE_PGM_RSRC2:TGID_Y_EN: 0
; COMPUTE_PGM_RSRC2:TGID_Z_EN: 1
; COMPUTE_PGM_RSRC2:TIDIG_COMP_CNT: 0
; COMPUTE_PGM_RSRC3_GFX90A:ACCUM_OFFSET: 7
; COMPUTE_PGM_RSRC3_GFX90A:TG_SPLIT: 0
	.section	.text._ZL26rocblas_trtri_small_kernelILi16E19rocblas_complex_numIdEPKPKS1_PKPS1_Ev13rocblas_fill_17rocblas_diagonal_iT1_lillT2_lilli,"axG",@progbits,_ZL26rocblas_trtri_small_kernelILi16E19rocblas_complex_numIdEPKPKS1_PKPS1_Ev13rocblas_fill_17rocblas_diagonal_iT1_lillT2_lilli,comdat
	.globl	_ZL26rocblas_trtri_small_kernelILi16E19rocblas_complex_numIdEPKPKS1_PKPS1_Ev13rocblas_fill_17rocblas_diagonal_iT1_lillT2_lilli ; -- Begin function _ZL26rocblas_trtri_small_kernelILi16E19rocblas_complex_numIdEPKPKS1_PKPS1_Ev13rocblas_fill_17rocblas_diagonal_iT1_lillT2_lilli
	.p2align	8
	.type	_ZL26rocblas_trtri_small_kernelILi16E19rocblas_complex_numIdEPKPKS1_PKPS1_Ev13rocblas_fill_17rocblas_diagonal_iT1_lillT2_lilli,@function
_ZL26rocblas_trtri_small_kernelILi16E19rocblas_complex_numIdEPKPKS1_PKPS1_Ev13rocblas_fill_17rocblas_diagonal_iT1_lillT2_lilli: ; @_ZL26rocblas_trtri_small_kernelILi16E19rocblas_complex_numIdEPKPKS1_PKPS1_Ev13rocblas_fill_17rocblas_diagonal_iT1_lillT2_lilli
; %bb.0:
	s_load_dwordx4 s[8:11], s[0:1], 0x0
	s_waitcnt lgkmcnt(0)
	s_cmp_lt_i32 s10, 1
	s_cbranch_scc1 .LBB29_41
; %bb.1:
	s_load_dwordx4 s[16:19], s[0:1], 0x30
	s_load_dwordx2 s[20:21], s[0:1], 0x40
	s_mov_b32 s4, s3
	s_mov_b32 s5, 0
	s_lshl_b64 s[26:27], s[4:5], 3
	s_waitcnt lgkmcnt(0)
	s_add_u32 s4, s18, s26
	s_addc_u32 s5, s19, s27
	s_load_dwordx2 s[18:19], s[4:5], 0x0
	v_cmp_le_u32_e64 s[4:5], s10, v0
	v_cmp_gt_u32_e64 s[6:7], s10, v0
	s_and_saveexec_b64 s[22:23], s[6:7]
	s_cbranch_execz .LBB29_9
; %bb.2:
	s_load_dwordx4 s[12:15], s[0:1], 0x10
	s_load_dword s24, s[0:1], 0x20
	s_mul_i32 s3, s17, s2
	s_mul_hi_u32 s11, s16, s2
	s_mul_i32 s16, s16, s2
	s_waitcnt lgkmcnt(0)
	s_add_u32 s12, s12, s26
	s_addc_u32 s13, s13, s27
	s_load_dwordx2 s[12:13], s[12:13], 0x0
	s_add_i32 s17, s11, s3
	s_cmpk_lg_i32 s8, 0x7a
	s_mov_b64 s[26:27], -1
	s_cbranch_scc0 .LBB29_6
; %bb.3:
	s_add_i32 s11, s10, -1
	s_ashr_i32 s25, s24, 31
	s_mul_i32 s28, s25, s11
	s_mul_hi_u32 s29, s24, s11
	s_add_i32 s29, s29, s28
	s_mul_i32 s28, s24, s11
	s_lshl_b32 s3, s10, 4
	s_lshl_b64 s[26:27], s[16:17], 4
	s_lshl_b64 s[28:29], s[28:29], 4
	v_sub_u32_e32 v1, s11, v0
	s_add_u32 s11, s26, s28
	s_addc_u32 s28, s27, s29
	s_lshl_b64 s[26:27], s[14:15], 4
	s_add_u32 s11, s11, s26
	s_addc_u32 s27, s28, s27
	s_waitcnt lgkmcnt(0)
	s_add_u32 s26, s12, s11
	s_addc_u32 s27, s13, s27
	s_lshl_b64 s[28:29], s[24:25], 4
	v_lshlrev_b32_e32 v2, 4, v0
	v_mov_b32_e32 v3, 0
	s_sub_u32 s28, 0, s28
	v_lshlrev_b32_e32 v1, 4, v1
	v_lshl_add_u64 v[2:3], s[26:27], 0, v[2:3]
	s_mov_b64 s[26:27], 0
	s_subb_u32 s29, 0, s29
	s_mov_b32 s11, s10
.LBB29_4:                               ; =>This Inner Loop Header: Depth=1
	flat_load_dwordx4 v[4:7], v[2:3]
	s_add_i32 s11, s11, -1
	v_cmp_le_u32_e32 vcc, s11, v0
	v_lshl_add_u64 v[2:3], v[2:3], 0, s[28:29]
	s_or_b64 s[26:27], vcc, s[26:27]
	s_waitcnt vmcnt(0) lgkmcnt(0)
	ds_write2_b64 v1, v[4:5], v[6:7] offset1:1
	v_add_u32_e32 v1, s3, v1
	s_andn2_b64 exec, exec, s[26:27]
	s_cbranch_execnz .LBB29_4
; %bb.5:
	s_or_b64 exec, exec, s[26:27]
	s_mov_b64 s[26:27], 0
.LBB29_6:
	s_and_b64 vcc, exec, s[26:27]
	s_cbranch_vccz .LBB29_9
; %bb.7:
	s_lshl_b64 s[14:15], s[14:15], 4
	s_waitcnt lgkmcnt(0)
	s_add_u32 s3, s12, s14
	s_addc_u32 s11, s13, s15
	s_lshl_b64 s[12:13], s[16:17], 4
	s_add_u32 s12, s3, s12
	s_addc_u32 s13, s11, s13
	s_ashr_i32 s25, s24, 31
	v_lshlrev_b32_e32 v2, 4, v0
	v_mov_b32_e32 v3, 0
	v_lshl_add_u64 v[4:5], s[12:13], 0, v[2:3]
	v_add_u32_e32 v1, 1, v0
	s_lshl_b32 s3, s10, 4
	s_lshl_b64 s[12:13], s[24:25], 4
	s_mov_b64 s[14:15], 0
.LBB29_8:                               ; =>This Inner Loop Header: Depth=1
	flat_load_dwordx4 v[6:9], v[4:5]
	v_add_u32_e32 v1, -1, v1
	v_cmp_eq_u32_e32 vcc, 0, v1
	v_lshl_add_u64 v[4:5], v[4:5], 0, s[12:13]
	s_or_b64 s[14:15], vcc, s[14:15]
	s_waitcnt vmcnt(0) lgkmcnt(0)
	ds_write2_b64 v2, v[6:7], v[8:9] offset1:1
	v_add_u32_e32 v2, s3, v2
	s_andn2_b64 exec, exec, s[14:15]
	s_cbranch_execnz .LBB29_8
.LBB29_9:
	s_or_b64 exec, exec, s[22:23]
	s_waitcnt lgkmcnt(0)
	; wave barrier
                                        ; implicit-def: $vgpr10
	s_and_saveexec_b64 s[12:13], s[4:5]
	s_xor_b64 s[4:5], exec, s[12:13]
; %bb.10:
	v_mad_u64_u32 v[10:11], s[12:13], v0, s10, v[0:1]
; %bb.11:
	s_andn2_saveexec_b64 s[12:13], s[4:5]
	s_cbranch_execz .LBB29_22
; %bb.12:
	v_mad_u64_u32 v[10:11], s[4:5], v0, s10, v[0:1]
	s_cmpk_eq_i32 s9, 0x84
	v_lshlrev_b32_e32 v1, 4, v10
	s_cbranch_scc1 .LBB29_20
; %bb.13:
	ds_read_b128 v[2:5], v1
	v_mov_b64_e32 v[8:9], 0
	v_mov_b64_e32 v[6:7], 1.0
	s_waitcnt lgkmcnt(0)
	v_cmp_neq_f64_e32 vcc, 0, v[2:3]
	v_cmp_neq_f64_e64 s[4:5], 0, v[4:5]
	s_or_b64 s[14:15], vcc, s[4:5]
	s_and_saveexec_b64 s[4:5], s[14:15]
	s_cbranch_execz .LBB29_19
; %bb.14:
	v_cmp_ngt_f64_e64 s[14:15], |v[2:3]|, |v[4:5]|
                                        ; implicit-def: $vgpr8_vgpr9
	s_and_saveexec_b64 s[16:17], s[14:15]
	s_xor_b64 s[14:15], exec, s[16:17]
	s_cbranch_execz .LBB29_16
; %bb.15:
	v_div_scale_f64 v[6:7], s[16:17], v[4:5], v[4:5], v[2:3]
	v_rcp_f64_e32 v[8:9], v[6:7]
	v_div_scale_f64 v[12:13], vcc, v[2:3], v[4:5], v[2:3]
	v_fma_f64 v[14:15], -v[6:7], v[8:9], 1.0
	v_fmac_f64_e32 v[8:9], v[8:9], v[14:15]
	v_fma_f64 v[14:15], -v[6:7], v[8:9], 1.0
	v_fmac_f64_e32 v[8:9], v[8:9], v[14:15]
	v_mul_f64 v[14:15], v[12:13], v[8:9]
	v_fma_f64 v[6:7], -v[6:7], v[14:15], v[12:13]
	v_div_fmas_f64 v[6:7], v[6:7], v[8:9], v[14:15]
	v_div_fixup_f64 v[6:7], v[6:7], v[4:5], v[2:3]
	v_fmac_f64_e32 v[4:5], v[2:3], v[6:7]
	v_div_scale_f64 v[2:3], s[16:17], v[4:5], v[4:5], 1.0
	v_rcp_f64_e32 v[8:9], v[2:3]
	s_nop 0
	v_fma_f64 v[12:13], -v[2:3], v[8:9], 1.0
	v_fmac_f64_e32 v[8:9], v[8:9], v[12:13]
	v_fma_f64 v[12:13], -v[2:3], v[8:9], 1.0
	v_fmac_f64_e32 v[8:9], v[8:9], v[12:13]
	v_div_scale_f64 v[12:13], vcc, 1.0, v[4:5], 1.0
	v_mul_f64 v[14:15], v[12:13], v[8:9]
	v_fma_f64 v[2:3], -v[2:3], v[14:15], v[12:13]
	s_nop 1
	v_div_fmas_f64 v[2:3], v[2:3], v[8:9], v[14:15]
	v_div_fixup_f64 v[8:9], v[2:3], v[4:5], 1.0
	v_mul_f64 v[6:7], v[6:7], v[8:9]
	v_xor_b32_e32 v9, 0x80000000, v9
                                        ; implicit-def: $vgpr2_vgpr3
.LBB29_16:
	s_andn2_saveexec_b64 s[14:15], s[14:15]
	s_cbranch_execz .LBB29_18
; %bb.17:
	v_div_scale_f64 v[6:7], s[16:17], v[2:3], v[2:3], v[4:5]
	v_rcp_f64_e32 v[8:9], v[6:7]
	v_div_scale_f64 v[12:13], vcc, v[4:5], v[2:3], v[4:5]
	v_fma_f64 v[14:15], -v[6:7], v[8:9], 1.0
	v_fmac_f64_e32 v[8:9], v[8:9], v[14:15]
	v_fma_f64 v[14:15], -v[6:7], v[8:9], 1.0
	v_fmac_f64_e32 v[8:9], v[8:9], v[14:15]
	v_mul_f64 v[14:15], v[12:13], v[8:9]
	v_fma_f64 v[6:7], -v[6:7], v[14:15], v[12:13]
	v_div_fmas_f64 v[6:7], v[6:7], v[8:9], v[14:15]
	v_div_fixup_f64 v[8:9], v[6:7], v[2:3], v[4:5]
	v_fmac_f64_e32 v[2:3], v[4:5], v[8:9]
	v_div_scale_f64 v[4:5], s[16:17], v[2:3], v[2:3], 1.0
	v_rcp_f64_e32 v[6:7], v[4:5]
	s_nop 0
	v_fma_f64 v[12:13], -v[4:5], v[6:7], 1.0
	v_fmac_f64_e32 v[6:7], v[6:7], v[12:13]
	v_fma_f64 v[12:13], -v[4:5], v[6:7], 1.0
	v_fmac_f64_e32 v[6:7], v[6:7], v[12:13]
	v_div_scale_f64 v[12:13], vcc, 1.0, v[2:3], 1.0
	v_mul_f64 v[14:15], v[12:13], v[6:7]
	v_fma_f64 v[4:5], -v[4:5], v[14:15], v[12:13]
	s_nop 1
	v_div_fmas_f64 v[4:5], v[4:5], v[6:7], v[14:15]
	v_div_fixup_f64 v[6:7], v[4:5], v[2:3], 1.0
	v_mul_f64 v[8:9], v[8:9], -v[6:7]
.LBB29_18:
	s_or_b64 exec, exec, s[14:15]
.LBB29_19:
	s_or_b64 exec, exec, s[4:5]
	s_branch .LBB29_21
.LBB29_20:
	v_mov_b64_e32 v[8:9], 0
	v_mov_b64_e32 v[6:7], 1.0
.LBB29_21:
	ds_write_b128 v1, v[6:9]
.LBB29_22:
	s_or_b64 exec, exec, s[12:13]
	v_lshlrev_b32_e32 v1, 4, v0
	s_lshl_b32 s9, s10, 4
	v_lshlrev_b32_e32 v6, 4, v10
	v_add_u32_e32 v7, s9, v1
	s_mov_b32 s3, 16
	s_add_i32 s11, s9, 16
	s_mov_b32 s12, 0
	s_waitcnt lgkmcnt(0)
	; wave barrier
	s_branch .LBB29_24
.LBB29_23:                              ;   in Loop: Header=BB29_24 Depth=1
	s_add_i32 s3, s3, s11
	s_cmp_eq_u32 s12, s10
	v_add_u32_e32 v7, s9, v7
	; wave barrier
	s_cbranch_scc1 .LBB29_33
.LBB29_24:                              ; =>This Loop Header: Depth=1
                                        ;     Child Loop BB29_29 Depth 2
	v_cmp_lt_u32_e32 vcc, s12, v0
	v_mov_b64_e32 v[2:3], 0
	s_mul_i32 s13, s12, s10
	v_mov_b64_e32 v[4:5], 0
	s_and_saveexec_b64 s[4:5], vcc
	s_cbranch_execz .LBB29_26
; %bb.25:                               ;   in Loop: Header=BB29_24 Depth=1
	s_lshl_b32 s14, s13, 4
	s_lshl_b32 s15, s12, 4
	v_add_u32_e32 v8, s14, v1
	s_add_i32 s14, s15, s14
	v_mov_b32_e32 v2, s14
	ds_read_b128 v[2:5], v2
	ds_read_b128 v[8:11], v8
	s_waitcnt lgkmcnt(0)
	v_mul_f64 v[12:13], v[4:5], v[10:11]
	v_mul_f64 v[10:11], v[2:3], v[10:11]
	v_fma_f64 v[2:3], v[2:3], v[8:9], -v[12:13]
	v_fmac_f64_e32 v[10:11], v[4:5], v[8:9]
	v_add_f64 v[2:3], v[2:3], 0
	v_add_f64 v[4:5], v[10:11], 0
.LBB29_26:                              ;   in Loop: Header=BB29_24 Depth=1
	s_or_b64 exec, exec, s[4:5]
	s_add_i32 s12, s12, 1
	s_cmp_ge_i32 s12, s10
	; wave barrier
	s_cbranch_scc1 .LBB29_23
; %bb.27:                               ;   in Loop: Header=BB29_24 Depth=1
	v_lshl_add_u32 v8, s13, 4, v1
	s_mov_b32 s13, s3
	v_mov_b32_e32 v9, v7
	s_mov_b32 s14, s12
	s_branch .LBB29_29
.LBB29_28:                              ;   in Loop: Header=BB29_29 Depth=2
	s_or_b64 exec, exec, s[4:5]
	s_add_i32 s14, s14, 1
	s_add_i32 s13, s13, 16
	s_cmp_eq_u32 s10, s14
	v_add_u32_e32 v9, s9, v9
	; wave barrier
	s_cbranch_scc1 .LBB29_23
.LBB29_29:                              ;   Parent Loop BB29_24 Depth=1
                                        ; =>  This Inner Loop Header: Depth=2
	v_cmp_eq_u32_e32 vcc, s14, v0
	s_and_saveexec_b64 s[4:5], vcc
	s_cbranch_execz .LBB29_31
; %bb.30:                               ;   in Loop: Header=BB29_29 Depth=2
	ds_read_b128 v[10:13], v6
	v_add_f64 v[16:17], -v[2:3], 0
	s_waitcnt lgkmcnt(0)
	v_mul_f64 v[14:15], v[4:5], v[12:13]
	v_mul_f64 v[18:19], v[4:5], v[10:11]
	v_fmac_f64_e32 v[14:15], v[16:17], v[10:11]
	v_fma_f64 v[16:17], v[16:17], v[12:13], -v[18:19]
	ds_write_b128 v8, v[14:17]
.LBB29_31:                              ;   in Loop: Header=BB29_29 Depth=2
	s_or_b64 exec, exec, s[4:5]
	v_cmp_lt_u32_e32 vcc, s14, v0
	s_waitcnt lgkmcnt(0)
	; wave barrier
	s_and_saveexec_b64 s[4:5], vcc
	s_cbranch_execz .LBB29_28
; %bb.32:                               ;   in Loop: Header=BB29_29 Depth=2
	v_mov_b32_e32 v14, s13
	ds_read_b128 v[10:13], v9
	ds_read_b128 v[14:17], v14
	s_waitcnt lgkmcnt(0)
	v_mul_f64 v[18:19], v[16:17], v[12:13]
	v_mul_f64 v[12:13], v[14:15], v[12:13]
	v_fma_f64 v[14:15], v[14:15], v[10:11], -v[18:19]
	v_fmac_f64_e32 v[12:13], v[16:17], v[10:11]
	v_add_f64 v[2:3], v[2:3], v[14:15]
	v_add_f64 v[4:5], v[4:5], v[12:13]
	s_branch .LBB29_28
.LBB29_33:
	s_and_saveexec_b64 s[4:5], s[6:7]
	s_cbranch_execz .LBB29_41
; %bb.34:
	s_load_dwordx2 s[6:7], s[0:1], 0x58
	s_load_dword s4, s[0:1], 0x48
	s_waitcnt lgkmcnt(0)
	s_mul_i32 s0, s7, s2
	s_mul_hi_u32 s1, s6, s2
	s_add_i32 s1, s1, s0
	s_mul_i32 s0, s6, s2
	s_cmpk_lg_i32 s8, 0x7a
	s_mov_b64 s[2:3], -1
	s_cbranch_scc0 .LBB29_38
; %bb.35:
	s_add_i32 s6, s10, -1
	s_ashr_i32 s5, s4, 31
	s_mul_i32 s7, s5, s6
	s_mul_hi_u32 s8, s4, s6
	v_sub_u32_e32 v2, s6, v0
	s_add_i32 s7, s8, s7
	s_mul_i32 s6, s4, s6
	s_lshl_b64 s[2:3], s[0:1], 4
	s_lshl_b64 s[6:7], s[6:7], 4
	s_add_u32 s6, s2, s6
	s_addc_u32 s7, s3, s7
	s_lshl_b64 s[2:3], s[20:21], 4
	s_add_u32 s2, s6, s2
	s_addc_u32 s3, s7, s3
	s_add_u32 s2, s18, s2
	s_addc_u32 s3, s19, s3
	s_lshl_b64 s[6:7], s[4:5], 4
	v_lshlrev_b32_e32 v4, 4, v2
	v_lshlrev_b32_e32 v2, 4, v0
	v_mov_b32_e32 v3, 0
	s_sub_u32 s6, 0, s6
	v_lshl_add_u64 v[2:3], s[2:3], 0, v[2:3]
	s_mov_b64 s[2:3], 0
	s_subb_u32 s7, 0, s7
.LBB29_36:                              ; =>This Inner Loop Header: Depth=1
	ds_read2_b64 v[6:9], v4 offset1:1
	s_add_i32 s10, s10, -1
	v_cmp_le_u32_e32 vcc, s10, v0
	v_add_u32_e32 v4, s9, v4
	s_or_b64 s[2:3], vcc, s[2:3]
	s_waitcnt lgkmcnt(0)
	flat_store_dwordx4 v[2:3], v[6:9]
	v_lshl_add_u64 v[2:3], v[2:3], 0, s[6:7]
	s_andn2_b64 exec, exec, s[2:3]
	s_cbranch_execnz .LBB29_36
; %bb.37:
	s_or_b64 exec, exec, s[2:3]
	s_mov_b64 s[2:3], 0
.LBB29_38:
	s_and_b64 vcc, exec, s[2:3]
	s_cbranch_vccz .LBB29_41
; %bb.39:
	s_lshl_b64 s[2:3], s[20:21], 4
	s_add_u32 s2, s18, s2
	s_addc_u32 s3, s19, s3
	s_lshl_b64 s[0:1], s[0:1], 4
	s_add_u32 s0, s2, s0
	s_addc_u32 s1, s3, s1
	s_ashr_i32 s5, s4, 31
	v_lshlrev_b32_e32 v2, 4, v0
	v_mov_b32_e32 v3, 0
	v_lshl_add_u64 v[2:3], s[0:1], 0, v[2:3]
	v_add_u32_e32 v0, 1, v0
	s_lshl_b64 s[0:1], s[4:5], 4
	s_mov_b64 s[2:3], 0
.LBB29_40:                              ; =>This Inner Loop Header: Depth=1
	ds_read2_b64 v[4:7], v1 offset1:1
	v_add_u32_e32 v0, -1, v0
	v_cmp_eq_u32_e32 vcc, 0, v0
	v_add_u32_e32 v1, s9, v1
	s_or_b64 s[2:3], vcc, s[2:3]
	s_waitcnt lgkmcnt(0)
	flat_store_dwordx4 v[2:3], v[4:7]
	v_lshl_add_u64 v[2:3], v[2:3], 0, s[0:1]
	s_andn2_b64 exec, exec, s[2:3]
	s_cbranch_execnz .LBB29_40
.LBB29_41:
	s_endpgm
	.section	.rodata,"a",@progbits
	.p2align	6, 0x0
	.amdhsa_kernel _ZL26rocblas_trtri_small_kernelILi16E19rocblas_complex_numIdEPKPKS1_PKPS1_Ev13rocblas_fill_17rocblas_diagonal_iT1_lillT2_lilli
		.amdhsa_group_segment_fixed_size 4096
		.amdhsa_private_segment_fixed_size 0
		.amdhsa_kernarg_size 100
		.amdhsa_user_sgpr_count 2
		.amdhsa_user_sgpr_dispatch_ptr 0
		.amdhsa_user_sgpr_queue_ptr 0
		.amdhsa_user_sgpr_kernarg_segment_ptr 1
		.amdhsa_user_sgpr_dispatch_id 0
		.amdhsa_user_sgpr_kernarg_preload_length 0
		.amdhsa_user_sgpr_kernarg_preload_offset 0
		.amdhsa_user_sgpr_private_segment_size 0
		.amdhsa_uses_dynamic_stack 0
		.amdhsa_enable_private_segment 0
		.amdhsa_system_sgpr_workgroup_id_x 1
		.amdhsa_system_sgpr_workgroup_id_y 0
		.amdhsa_system_sgpr_workgroup_id_z 1
		.amdhsa_system_sgpr_workgroup_info 0
		.amdhsa_system_vgpr_workitem_id 0
		.amdhsa_next_free_vgpr 20
		.amdhsa_next_free_sgpr 30
		.amdhsa_accum_offset 20
		.amdhsa_reserve_vcc 1
		.amdhsa_float_round_mode_32 0
		.amdhsa_float_round_mode_16_64 0
		.amdhsa_float_denorm_mode_32 3
		.amdhsa_float_denorm_mode_16_64 3
		.amdhsa_dx10_clamp 1
		.amdhsa_ieee_mode 1
		.amdhsa_fp16_overflow 0
		.amdhsa_tg_split 0
		.amdhsa_exception_fp_ieee_invalid_op 0
		.amdhsa_exception_fp_denorm_src 0
		.amdhsa_exception_fp_ieee_div_zero 0
		.amdhsa_exception_fp_ieee_overflow 0
		.amdhsa_exception_fp_ieee_underflow 0
		.amdhsa_exception_fp_ieee_inexact 0
		.amdhsa_exception_int_div_zero 0
	.end_amdhsa_kernel
	.section	.text._ZL26rocblas_trtri_small_kernelILi16E19rocblas_complex_numIdEPKPKS1_PKPS1_Ev13rocblas_fill_17rocblas_diagonal_iT1_lillT2_lilli,"axG",@progbits,_ZL26rocblas_trtri_small_kernelILi16E19rocblas_complex_numIdEPKPKS1_PKPS1_Ev13rocblas_fill_17rocblas_diagonal_iT1_lillT2_lilli,comdat
.Lfunc_end29:
	.size	_ZL26rocblas_trtri_small_kernelILi16E19rocblas_complex_numIdEPKPKS1_PKPS1_Ev13rocblas_fill_17rocblas_diagonal_iT1_lillT2_lilli, .Lfunc_end29-_ZL26rocblas_trtri_small_kernelILi16E19rocblas_complex_numIdEPKPKS1_PKPS1_Ev13rocblas_fill_17rocblas_diagonal_iT1_lillT2_lilli
                                        ; -- End function
	.set _ZL26rocblas_trtri_small_kernelILi16E19rocblas_complex_numIdEPKPKS1_PKPS1_Ev13rocblas_fill_17rocblas_diagonal_iT1_lillT2_lilli.num_vgpr, 20
	.set _ZL26rocblas_trtri_small_kernelILi16E19rocblas_complex_numIdEPKPKS1_PKPS1_Ev13rocblas_fill_17rocblas_diagonal_iT1_lillT2_lilli.num_agpr, 0
	.set _ZL26rocblas_trtri_small_kernelILi16E19rocblas_complex_numIdEPKPKS1_PKPS1_Ev13rocblas_fill_17rocblas_diagonal_iT1_lillT2_lilli.numbered_sgpr, 30
	.set _ZL26rocblas_trtri_small_kernelILi16E19rocblas_complex_numIdEPKPKS1_PKPS1_Ev13rocblas_fill_17rocblas_diagonal_iT1_lillT2_lilli.num_named_barrier, 0
	.set _ZL26rocblas_trtri_small_kernelILi16E19rocblas_complex_numIdEPKPKS1_PKPS1_Ev13rocblas_fill_17rocblas_diagonal_iT1_lillT2_lilli.private_seg_size, 0
	.set _ZL26rocblas_trtri_small_kernelILi16E19rocblas_complex_numIdEPKPKS1_PKPS1_Ev13rocblas_fill_17rocblas_diagonal_iT1_lillT2_lilli.uses_vcc, 1
	.set _ZL26rocblas_trtri_small_kernelILi16E19rocblas_complex_numIdEPKPKS1_PKPS1_Ev13rocblas_fill_17rocblas_diagonal_iT1_lillT2_lilli.uses_flat_scratch, 0
	.set _ZL26rocblas_trtri_small_kernelILi16E19rocblas_complex_numIdEPKPKS1_PKPS1_Ev13rocblas_fill_17rocblas_diagonal_iT1_lillT2_lilli.has_dyn_sized_stack, 0
	.set _ZL26rocblas_trtri_small_kernelILi16E19rocblas_complex_numIdEPKPKS1_PKPS1_Ev13rocblas_fill_17rocblas_diagonal_iT1_lillT2_lilli.has_recursion, 0
	.set _ZL26rocblas_trtri_small_kernelILi16E19rocblas_complex_numIdEPKPKS1_PKPS1_Ev13rocblas_fill_17rocblas_diagonal_iT1_lillT2_lilli.has_indirect_call, 0
	.section	.AMDGPU.csdata,"",@progbits
; Kernel info:
; codeLenInByte = 1680
; TotalNumSgprs: 36
; NumVgprs: 20
; NumAgprs: 0
; TotalNumVgprs: 20
; ScratchSize: 0
; MemoryBound: 0
; FloatMode: 240
; IeeeMode: 1
; LDSByteSize: 4096 bytes/workgroup (compile time only)
; SGPRBlocks: 4
; VGPRBlocks: 2
; NumSGPRsForWavesPerEU: 36
; NumVGPRsForWavesPerEU: 20
; AccumOffset: 20
; Occupancy: 8
; WaveLimiterHint : 0
; COMPUTE_PGM_RSRC2:SCRATCH_EN: 0
; COMPUTE_PGM_RSRC2:USER_SGPR: 2
; COMPUTE_PGM_RSRC2:TRAP_HANDLER: 0
; COMPUTE_PGM_RSRC2:TGID_X_EN: 1
; COMPUTE_PGM_RSRC2:TGID_Y_EN: 0
; COMPUTE_PGM_RSRC2:TGID_Z_EN: 1
; COMPUTE_PGM_RSRC2:TIDIG_COMP_CNT: 0
; COMPUTE_PGM_RSRC3_GFX90A:ACCUM_OFFSET: 4
; COMPUTE_PGM_RSRC3_GFX90A:TG_SPLIT: 0
	.section	.text._ZL29rocblas_trtri_diagonal_kernelILi16E19rocblas_complex_numIdEPKPKS1_PKPS1_Ev13rocblas_fill_17rocblas_diagonal_iT1_lillT2_lilli,"axG",@progbits,_ZL29rocblas_trtri_diagonal_kernelILi16E19rocblas_complex_numIdEPKPKS1_PKPS1_Ev13rocblas_fill_17rocblas_diagonal_iT1_lillT2_lilli,comdat
	.globl	_ZL29rocblas_trtri_diagonal_kernelILi16E19rocblas_complex_numIdEPKPKS1_PKPS1_Ev13rocblas_fill_17rocblas_diagonal_iT1_lillT2_lilli ; -- Begin function _ZL29rocblas_trtri_diagonal_kernelILi16E19rocblas_complex_numIdEPKPKS1_PKPS1_Ev13rocblas_fill_17rocblas_diagonal_iT1_lillT2_lilli
	.p2align	8
	.type	_ZL29rocblas_trtri_diagonal_kernelILi16E19rocblas_complex_numIdEPKPKS1_PKPS1_Ev13rocblas_fill_17rocblas_diagonal_iT1_lillT2_lilli,@function
_ZL29rocblas_trtri_diagonal_kernelILi16E19rocblas_complex_numIdEPKPKS1_PKPS1_Ev13rocblas_fill_17rocblas_diagonal_iT1_lillT2_lilli: ; @_ZL29rocblas_trtri_diagonal_kernelILi16E19rocblas_complex_numIdEPKPKS1_PKPS1_Ev13rocblas_fill_17rocblas_diagonal_iT1_lillT2_lilli
; %bb.0:
	s_load_dwordx4 s[8:11], s[0:1], 0x0
	s_mov_b32 s4, s3
	s_waitcnt lgkmcnt(0)
	s_ashr_i32 s3, s10, 31
	s_lshr_b32 s3, s3, 27
	s_add_i32 s3, s10, s3
	s_ashr_i32 s3, s3, 5
	v_cvt_f32_u32_e32 v1, s3
	s_sub_i32 s5, 0, s3
	v_rcp_iflag_f32_e32 v1, v1
	s_nop 0
	v_mul_f32_e32 v1, 0x4f7ffffe, v1
	v_cvt_u32_f32_e32 v1, v1
	s_nop 0
	v_readfirstlane_b32 s6, v1
	s_mul_i32 s5, s5, s6
	s_mul_hi_u32 s5, s6, s5
	s_add_i32 s6, s6, s5
	s_mul_hi_u32 s5, s2, s6
	s_mul_i32 s6, s5, s3
	s_sub_i32 s6, s2, s6
	s_add_i32 s7, s5, 1
	s_sub_i32 s11, s6, s3
	s_cmp_ge_u32 s6, s3
	s_cselect_b32 s5, s7, s5
	s_cselect_b32 s6, s11, s6
	s_add_i32 s7, s5, 1
	s_cmp_ge_u32 s6, s3
	s_cselect_b32 s30, s7, s5
	s_mul_i32 s3, s30, s3
	s_sub_i32 s31, s2, s3
	s_lshl_b32 s2, s31, 4
	s_cmp_eq_u32 s10, s2
	s_mov_b32 s5, 0
	s_cbranch_scc1 .LBB30_98
; %bb.1:
	s_load_dwordx4 s[12:15], s[0:1], 0x10
	s_load_dwordx4 s[16:19], s[0:1], 0x30
	s_load_dwordx2 s[20:21], s[0:1], 0x40
	s_lshl_b64 s[4:5], s[4:5], 3
	v_mov_b32_e32 v10, v0
	s_waitcnt lgkmcnt(0)
	s_add_u32 s6, s12, s4
	s_addc_u32 s7, s13, s5
	s_add_u32 s4, s18, s4
	s_addc_u32 s5, s19, s5
	s_load_dwordx2 s[22:23], s[6:7], 0x0
	s_load_dwordx2 s[12:13], s[4:5], 0x0
	s_sub_i32 s29, s10, s2
	s_min_u32 s28, s29, 16
	s_lshl_b32 s24, s28, 1
	v_cmp_gt_u32_e64 s[6:7], s28, v0
	v_cmp_le_u32_e64 s[4:5], s28, v0
	v_cmp_gt_u32_e64 s[2:3], s24, v0
	v_cmp_le_u32_e32 vcc, s24, v0
	s_and_saveexec_b64 s[10:11], s[4:5]
	s_cbranch_execz .LBB30_7
; %bb.2:
                                        ; implicit-def: $vgpr10
	s_and_saveexec_b64 s[18:19], vcc
	s_xor_b64 s[18:19], exec, s[18:19]
; %bb.3:
	v_subrev_u32_e32 v10, s24, v0
; %bb.4:
	s_andn2_saveexec_b64 s[18:19], s[18:19]
; %bb.5:
	v_subrev_u32_e32 v10, s28, v0
; %bb.6:
	s_or_b64 exec, exec, s[18:19]
.LBB30_7:
	s_or_b64 exec, exec, s[10:11]
	s_load_dword s10, s[0:1], 0x20
	v_mov_b32_e32 v1, 0x3000
	v_mov_b32_e32 v2, 0x2000
	v_cndmask_b32_e64 v1, 0, v1, s[2:3]
	v_cndmask_b32_e64 v12, v1, v2, s[6:7]
	s_waitcnt lgkmcnt(0)
	s_ashr_i32 s11, s10, 31
	s_lshl_b64 s[6:7], s[10:11], 5
	s_add_u32 s6, s6, 32
	s_addc_u32 s7, s7, 0
	s_mul_i32 s7, s7, s31
	s_mul_hi_u32 s18, s6, s31
	s_add_i32 s7, s18, s7
	s_mul_i32 s17, s17, s30
	s_mul_hi_u32 s18, s16, s30
	s_mul_i32 s6, s6, s31
	s_add_i32 s17, s18, s17
	s_mul_i32 s16, s16, s30
	s_and_saveexec_b64 s[18:19], vcc
	s_xor_b64 s[18:19], exec, s[18:19]
	s_cbranch_execz .LBB30_17
; %bb.8:
	s_mul_i32 s24, s28, 3
	v_cmp_gt_u32_e32 vcc, s24, v0
	s_and_saveexec_b64 s[24:25], vcc
	s_cbranch_execz .LBB30_16
; %bb.9:
	s_cmpk_eq_i32 s8, 0x7a
	s_mov_b64 s[26:27], -1
	s_cbranch_scc1 .LBB30_13
; %bb.10:
	s_add_i32 s26, s28, -1
	s_mul_i32 s27, s28, s26
	s_lshl_b32 s35, s28, 4
	s_add_i32 s33, s28, 1
	s_lshl_b32 s27, s27, 4
	v_lshlrev_b32_e32 v1, 4, v10
	s_sub_i32 s34, 0, s35
	s_lshl_b64 s[36:37], s[16:17], 4
	s_lshl_b64 s[38:39], s[6:7], 4
	v_add3_u32 v1, s27, v1, v12
	s_mov_b32 s27, 0
	s_add_u32 s36, s36, s38
	s_addc_u32 s37, s37, s39
	s_lshl_b64 s[26:27], s[26:27], 4
	s_add_u32 s26, s35, s26
	s_addc_u32 s27, 0, s27
	s_mul_i32 s35, s26, s11
	s_mul_hi_u32 s38, s26, s10
	s_add_i32 s35, s38, s35
	s_mul_i32 s27, s27, s10
	s_add_i32 s35, s35, s27
	s_mul_i32 s26, s26, s10
	s_add_u32 s36, s36, s26
	s_addc_u32 s35, s37, s35
	s_lshl_b64 s[26:27], s[14:15], 4
	s_add_u32 s26, s36, s26
	s_addc_u32 s27, s35, s27
	s_add_u32 s26, s22, s26
	v_ashrrev_i32_e32 v11, 31, v10
	s_addc_u32 s27, s23, s27
	v_lshl_add_u64 v[2:3], v[10:11], 4, s[26:27]
	s_lshl_b64 s[26:27], s[10:11], 4
	s_sub_u32 s26, 0, s26
	s_subb_u32 s27, 0, s27
.LBB30_11:                              ; =>This Inner Loop Header: Depth=1
	flat_load_dwordx4 v[4:7], v[2:3]
	s_add_i32 s33, s33, -1
	v_lshl_add_u64 v[2:3], v[2:3], 0, s[26:27]
	s_cmp_gt_u32 s33, 1
	s_waitcnt vmcnt(0) lgkmcnt(0)
	ds_write2_b64 v1, v[4:5], v[6:7] offset1:1
	v_add_u32_e32 v1, s34, v1
	s_cbranch_scc1 .LBB30_11
; %bb.12:
	s_mov_b64 s[26:27], 0
.LBB30_13:
	s_and_b64 vcc, exec, s[26:27]
	s_cbranch_vccz .LBB30_16
; %bb.14:
	s_lshl_b64 s[26:27], s[14:15], 4
	s_add_u32 s33, s22, s26
	s_addc_u32 s34, s23, s27
	s_lshl_b64 s[26:27], s[6:7], 4
	s_add_u32 s33, s33, s26
	s_addc_u32 s34, s34, s27
	s_lshl_b64 s[26:27], s[16:17], 4
	s_add_u32 s26, s33, s26
	v_add_u32_e32 v2, s28, v10
	s_addc_u32 s27, s34, s27
	v_ashrrev_i32_e32 v3, 31, v2
	v_lshl_add_u64 v[2:3], v[2:3], 4, s[26:27]
	v_lshl_add_u32 v1, v10, 4, v12
	s_lshl_b32 s33, s28, 4
	s_lshl_b64 s[26:27], s[10:11], 4
	s_mov_b32 s34, s28
.LBB30_15:                              ; =>This Inner Loop Header: Depth=1
	flat_load_dwordx4 v[4:7], v[2:3]
	s_add_i32 s34, s34, -1
	v_lshl_add_u64 v[2:3], v[2:3], 0, s[26:27]
	s_cmp_eq_u32 s34, 0
	s_waitcnt vmcnt(0) lgkmcnt(0)
	ds_write2_b64 v1, v[4:5], v[6:7] offset1:1
	v_add_u32_e32 v1, s33, v1
	s_cbranch_scc0 .LBB30_15
.LBB30_16:
	s_or_b64 exec, exec, s[24:25]
.LBB30_17:
	s_andn2_saveexec_b64 s[18:19], s[18:19]
	s_cbranch_execz .LBB30_31
; %bb.18:
	v_mov_b64_e32 v[2:3], 0
	s_and_saveexec_b64 s[24:25], s[4:5]
	s_cbranch_execnz .LBB30_21
; %bb.19:
	s_or_b64 exec, exec, s[24:25]
	s_cmpk_lg_i32 s8, 0x7a
	s_mov_b64 s[24:25], -1
	s_cbranch_scc1 .LBB30_22
.LBB30_20:
	s_and_b64 vcc, exec, s[24:25]
	s_cbranch_vccnz .LBB30_27
	s_branch .LBB30_31
.LBB30_21:
	s_add_u32 s26, s10, 1
	s_addc_u32 s27, s11, 0
	s_mul_i32 s27, s27, s28
	s_mul_hi_u32 s33, s26, s28
	s_add_i32 s27, s33, s27
	s_mul_i32 s26, s26, s28
	v_mov_b64_e32 v[2:3], s[26:27]
	s_or_b64 exec, exec, s[24:25]
	s_cmpk_lg_i32 s8, 0x7a
	s_mov_b64 s[24:25], -1
	s_cbranch_scc0 .LBB30_20
.LBB30_22:
	s_add_i32 s33, s28, -1
	s_lshl_b64 s[24:25], s[16:17], 4
	s_lshl_b64 s[26:27], s[6:7], 4
	s_add_u32 s26, s24, s26
	s_addc_u32 s27, s25, s27
	s_mul_i32 s24, s11, s33
	s_mul_hi_u32 s25, s10, s33
	s_add_i32 s25, s25, s24
	s_mul_i32 s24, s10, s33
	s_lshl_b64 s[24:25], s[24:25], 4
	s_add_u32 s26, s26, s24
	s_addc_u32 s27, s27, s25
	s_lshl_b64 s[24:25], s[14:15], 4
	s_add_u32 s24, s24, s26
	s_addc_u32 s25, s25, s27
	v_ashrrev_i32_e32 v11, 31, v10
	v_lshl_add_u64 v[4:5], v[2:3], 4, s[24:25]
	s_lshl_b64 s[24:25], s[10:11], 4
	v_sub_u32_e32 v1, s33, v10
	v_lshl_add_u64 v[4:5], v[10:11], 4, v[4:5]
	s_sub_u32 s24, 0, s24
	v_lshl_add_u32 v1, v1, 4, v12
	v_lshl_add_u64 v[4:5], s[22:23], 0, v[4:5]
	s_subb_u32 s25, 0, s25
	s_lshl_b32 s33, s28, 4
	s_mov_b32 s34, s28
	s_branch .LBB30_24
.LBB30_23:                              ;   in Loop: Header=BB30_24 Depth=1
	s_or_b64 exec, exec, s[26:27]
	s_waitcnt vmcnt(0) lgkmcnt(0)
	ds_write_b128 v1, v[6:9]
	v_lshl_add_u64 v[4:5], v[4:5], 0, s[24:25]
	s_cmp_lt_i32 s34, 1
	v_add_u32_e32 v1, s33, v1
	s_cbranch_scc1 .LBB30_26
.LBB30_24:                              ; =>This Inner Loop Header: Depth=1
	s_add_i32 s34, s34, -1
	v_cmp_ge_i32_e32 vcc, s34, v10
	v_mov_b64_e32 v[6:7], 0
	v_mov_b64_e32 v[8:9], 0
	s_and_saveexec_b64 s[26:27], vcc
	s_cbranch_execz .LBB30_23
; %bb.25:                               ;   in Loop: Header=BB30_24 Depth=1
	flat_load_dwordx4 v[6:9], v[4:5]
	s_branch .LBB30_23
.LBB30_26:
	s_branch .LBB30_31
.LBB30_27:
	s_lshl_b64 s[16:17], s[16:17], 4
	s_lshl_b64 s[6:7], s[6:7], 4
	s_add_u32 s16, s16, s6
	s_addc_u32 s17, s17, s7
	s_lshl_b64 s[6:7], s[14:15], 4
	s_add_u32 s6, s6, s16
	s_addc_u32 s7, s7, s17
	v_ashrrev_i32_e32 v11, 31, v10
	v_lshl_add_u64 v[2:3], v[2:3], 4, s[6:7]
	v_lshl_add_u64 v[2:3], v[10:11], 4, v[2:3]
	v_lshl_add_u32 v1, v10, 4, v12
	v_lshl_add_u64 v[2:3], s[22:23], 0, v[2:3]
	s_lshl_b64 s[6:7], s[10:11], 4
	s_lshl_b32 s14, s28, 4
	s_mov_b32 s15, 0
	s_branch .LBB30_29
.LBB30_28:                              ;   in Loop: Header=BB30_29 Depth=1
	s_or_b64 exec, exec, s[10:11]
	s_add_i32 s15, s15, 1
	s_waitcnt vmcnt(0) lgkmcnt(0)
	ds_write_b128 v1, v[4:7]
	v_lshl_add_u64 v[2:3], v[2:3], 0, s[6:7]
	s_cmp_eq_u32 s28, s15
	v_add_u32_e32 v1, s14, v1
	s_cbranch_scc1 .LBB30_31
.LBB30_29:                              ; =>This Inner Loop Header: Depth=1
	v_cmp_le_i32_e32 vcc, s15, v10
	v_mov_b64_e32 v[4:5], 0
	v_mov_b64_e32 v[6:7], 0
	s_and_saveexec_b64 s[10:11], vcc
	s_cbranch_execz .LBB30_28
; %bb.30:                               ;   in Loop: Header=BB30_29 Depth=1
	flat_load_dwordx4 v[4:7], v[2:3]
	s_branch .LBB30_28
.LBB30_31:
	s_or_b64 exec, exec, s[18:19]
	s_waitcnt lgkmcnt(0)
	s_barrier
	s_and_saveexec_b64 s[10:11], s[2:3]
	s_cbranch_execz .LBB30_42
; %bb.32:
	s_add_i32 s6, s28, 1
	v_mul_i32_i24_e32 v1, s6, v10
	s_cmpk_eq_i32 s9, 0x84
	v_lshl_add_u32 v1, v1, 4, v12
	s_cbranch_scc1 .LBB30_40
; %bb.33:
	ds_read_b128 v[2:5], v1
	v_mov_b64_e32 v[8:9], 0
	v_mov_b64_e32 v[6:7], 1.0
	s_waitcnt lgkmcnt(0)
	v_cmp_neq_f64_e32 vcc, 0, v[2:3]
	v_cmp_neq_f64_e64 s[6:7], 0, v[4:5]
	s_or_b64 s[14:15], vcc, s[6:7]
	s_and_saveexec_b64 s[6:7], s[14:15]
	s_cbranch_execz .LBB30_39
; %bb.34:
	v_cmp_ngt_f64_e64 s[14:15], |v[2:3]|, |v[4:5]|
                                        ; implicit-def: $vgpr8_vgpr9
	s_and_saveexec_b64 s[16:17], s[14:15]
	s_xor_b64 s[14:15], exec, s[16:17]
	s_cbranch_execz .LBB30_36
; %bb.35:
	v_div_scale_f64 v[6:7], s[16:17], v[4:5], v[4:5], v[2:3]
	v_rcp_f64_e32 v[8:9], v[6:7]
	v_div_scale_f64 v[14:15], vcc, v[2:3], v[4:5], v[2:3]
	v_fma_f64 v[16:17], -v[6:7], v[8:9], 1.0
	v_fmac_f64_e32 v[8:9], v[8:9], v[16:17]
	v_fma_f64 v[16:17], -v[6:7], v[8:9], 1.0
	v_fmac_f64_e32 v[8:9], v[8:9], v[16:17]
	v_mul_f64 v[16:17], v[14:15], v[8:9]
	v_fma_f64 v[6:7], -v[6:7], v[16:17], v[14:15]
	v_div_fmas_f64 v[6:7], v[6:7], v[8:9], v[16:17]
	v_div_fixup_f64 v[6:7], v[6:7], v[4:5], v[2:3]
	v_fmac_f64_e32 v[4:5], v[2:3], v[6:7]
	v_div_scale_f64 v[2:3], s[16:17], v[4:5], v[4:5], 1.0
	v_rcp_f64_e32 v[8:9], v[2:3]
	s_nop 0
	v_fma_f64 v[14:15], -v[2:3], v[8:9], 1.0
	v_fmac_f64_e32 v[8:9], v[8:9], v[14:15]
	v_fma_f64 v[14:15], -v[2:3], v[8:9], 1.0
	v_fmac_f64_e32 v[8:9], v[8:9], v[14:15]
	v_div_scale_f64 v[14:15], vcc, 1.0, v[4:5], 1.0
	v_mul_f64 v[16:17], v[14:15], v[8:9]
	v_fma_f64 v[2:3], -v[2:3], v[16:17], v[14:15]
	s_nop 1
	v_div_fmas_f64 v[2:3], v[2:3], v[8:9], v[16:17]
	v_div_fixup_f64 v[8:9], v[2:3], v[4:5], 1.0
	v_mul_f64 v[6:7], v[6:7], v[8:9]
	v_xor_b32_e32 v9, 0x80000000, v9
                                        ; implicit-def: $vgpr2_vgpr3
.LBB30_36:
	s_andn2_saveexec_b64 s[14:15], s[14:15]
	s_cbranch_execz .LBB30_38
; %bb.37:
	v_div_scale_f64 v[6:7], s[16:17], v[2:3], v[2:3], v[4:5]
	v_rcp_f64_e32 v[8:9], v[6:7]
	v_div_scale_f64 v[14:15], vcc, v[4:5], v[2:3], v[4:5]
	v_fma_f64 v[16:17], -v[6:7], v[8:9], 1.0
	v_fmac_f64_e32 v[8:9], v[8:9], v[16:17]
	v_fma_f64 v[16:17], -v[6:7], v[8:9], 1.0
	v_fmac_f64_e32 v[8:9], v[8:9], v[16:17]
	v_mul_f64 v[16:17], v[14:15], v[8:9]
	v_fma_f64 v[6:7], -v[6:7], v[16:17], v[14:15]
	v_div_fmas_f64 v[6:7], v[6:7], v[8:9], v[16:17]
	v_div_fixup_f64 v[8:9], v[6:7], v[2:3], v[4:5]
	v_fmac_f64_e32 v[2:3], v[4:5], v[8:9]
	v_div_scale_f64 v[4:5], s[16:17], v[2:3], v[2:3], 1.0
	v_rcp_f64_e32 v[6:7], v[4:5]
	s_nop 0
	v_fma_f64 v[14:15], -v[4:5], v[6:7], 1.0
	v_fmac_f64_e32 v[6:7], v[6:7], v[14:15]
	v_fma_f64 v[14:15], -v[4:5], v[6:7], 1.0
	v_fmac_f64_e32 v[6:7], v[6:7], v[14:15]
	v_div_scale_f64 v[14:15], vcc, 1.0, v[2:3], 1.0
	v_mul_f64 v[16:17], v[14:15], v[6:7]
	v_fma_f64 v[4:5], -v[4:5], v[16:17], v[14:15]
	s_nop 1
	v_div_fmas_f64 v[4:5], v[4:5], v[6:7], v[16:17]
	v_div_fixup_f64 v[6:7], v[4:5], v[2:3], 1.0
	v_mul_f64 v[8:9], v[8:9], -v[6:7]
.LBB30_38:
	s_or_b64 exec, exec, s[14:15]
.LBB30_39:
	s_or_b64 exec, exec, s[6:7]
	s_branch .LBB30_41
.LBB30_40:
	v_mov_b64_e32 v[8:9], 0
	v_mov_b64_e32 v[6:7], 1.0
.LBB30_41:
	ds_write_b128 v1, v[6:9]
.LBB30_42:
	s_or_b64 exec, exec, s[10:11]
	s_waitcnt lgkmcnt(0)
	s_barrier
	s_and_saveexec_b64 s[6:7], s[2:3]
	s_cbranch_execz .LBB30_54
; %bb.43:
	s_add_i32 s9, s28, 1
	v_lshlrev_b32_e32 v2, 4, v10
	v_mul_i32_i24_e32 v3, s9, v10
	s_lshl_b32 s9, s28, 4
	v_add_u32_e32 v1, v12, v2
	v_lshl_add_u32 v6, v3, 4, v12
	v_add3_u32 v7, v2, s9, v12
	v_add_u32_e32 v8, 16, v12
	s_add_i32 s14, s9, 16
	s_mov_b32 s15, 0
	s_branch .LBB30_45
.LBB30_44:                              ;   in Loop: Header=BB30_45 Depth=1
	v_add_u32_e32 v7, s9, v7
	s_cmp_eq_u32 s15, s28
	v_add_u32_e32 v8, s14, v8
	s_cbranch_scc1 .LBB30_54
.LBB30_45:                              ; =>This Loop Header: Depth=1
                                        ;     Child Loop BB30_50 Depth 2
	v_cmp_lt_i32_e32 vcc, s15, v10
	v_mov_b64_e32 v[2:3], 0
	s_mul_i32 s16, s15, s28
	v_mov_b64_e32 v[4:5], 0
	s_and_saveexec_b64 s[10:11], vcc
	s_cbranch_execz .LBB30_47
; %bb.46:                               ;   in Loop: Header=BB30_45 Depth=1
	s_lshl_b32 s17, s16, 4
	s_lshl_b32 s18, s15, 4
	v_add_u32_e32 v9, s17, v1
	s_add_i32 s17, s17, s18
	v_add_u32_e32 v2, s17, v12
	ds_read_b128 v[2:5], v2
	ds_read_b128 v[14:17], v9
	s_waitcnt lgkmcnt(0)
	v_mul_f64 v[18:19], v[4:5], v[16:17]
	v_mul_f64 v[16:17], v[2:3], v[16:17]
	v_fma_f64 v[2:3], v[2:3], v[14:15], -v[18:19]
	v_fmac_f64_e32 v[16:17], v[4:5], v[14:15]
	v_add_f64 v[2:3], v[2:3], 0
	v_add_f64 v[4:5], v[16:17], 0
.LBB30_47:                              ;   in Loop: Header=BB30_45 Depth=1
	s_or_b64 exec, exec, s[10:11]
	s_add_i32 s15, s15, 1
	s_cmp_ge_u32 s15, s28
	s_cbranch_scc1 .LBB30_44
; %bb.48:                               ;   in Loop: Header=BB30_45 Depth=1
	v_lshl_add_u32 v9, s16, 4, v1
	v_mov_b32_e32 v11, v8
	v_mov_b32_e32 v13, v7
	s_mov_b32 s16, s15
	s_branch .LBB30_50
.LBB30_49:                              ;   in Loop: Header=BB30_50 Depth=2
	s_or_b64 exec, exec, s[10:11]
	s_add_i32 s16, s16, 1
	v_add_u32_e32 v13, s9, v13
	s_cmp_eq_u32 s28, s16
	v_add_u32_e32 v11, 16, v11
	s_cbranch_scc1 .LBB30_44
.LBB30_50:                              ;   Parent Loop BB30_45 Depth=1
                                        ; =>  This Inner Loop Header: Depth=2
	v_cmp_eq_u32_e32 vcc, s16, v10
	s_and_saveexec_b64 s[10:11], vcc
	s_cbranch_execz .LBB30_52
; %bb.51:                               ;   in Loop: Header=BB30_50 Depth=2
	ds_read_b128 v[14:17], v6
	v_add_f64 v[20:21], -v[2:3], 0
	s_waitcnt lgkmcnt(0)
	v_mul_f64 v[18:19], v[4:5], v[16:17]
	v_mul_f64 v[22:23], v[4:5], v[14:15]
	v_fmac_f64_e32 v[18:19], v[20:21], v[14:15]
	v_fma_f64 v[20:21], v[20:21], v[16:17], -v[22:23]
	ds_write_b128 v9, v[18:21]
.LBB30_52:                              ;   in Loop: Header=BB30_50 Depth=2
	s_or_b64 exec, exec, s[10:11]
	v_cmp_lt_i32_e32 vcc, s16, v10
	s_and_saveexec_b64 s[10:11], vcc
	s_cbranch_execz .LBB30_49
; %bb.53:                               ;   in Loop: Header=BB30_50 Depth=2
	ds_read_b128 v[14:17], v11
	ds_read_b128 v[18:21], v13
	s_waitcnt lgkmcnt(0)
	v_mul_f64 v[22:23], v[16:17], v[20:21]
	v_mul_f64 v[20:21], v[14:15], v[20:21]
	v_fma_f64 v[14:15], v[14:15], v[18:19], -v[22:23]
	v_fmac_f64_e32 v[20:21], v[16:17], v[18:19]
	v_add_f64 v[2:3], v[2:3], v[14:15]
	v_add_f64 v[4:5], v[4:5], v[20:21]
	s_branch .LBB30_49
.LBB30_54:
	s_or_b64 exec, exec, s[6:7]
	s_and_b32 s6, s28, 0xffff
	v_cvt_f32_u32_e32 v1, s6
	v_cvt_f32_ubyte0_e32 v2, v0
	s_cmpk_lg_i32 s8, 0x7a
	s_cselect_b64 s[8:9], -1, 0
	v_rcp_iflag_f32_e32 v3, v1
	s_mul_i32 s6, s28, s28
	v_cmp_gt_u32_e64 s[6:7], s6, v0
	s_waitcnt lgkmcnt(0)
	v_mul_f32_e32 v3, v2, v3
	v_trunc_f32_e32 v3, v3
	v_cvt_u32_f32_e32 v4, v3
	v_fma_f32 v2, -v3, v1, v2
	v_cmp_ge_f32_e64 vcc, |v2|, v1
	s_barrier
	s_nop 0
	v_addc_co_u32_e32 v1, vcc, 0, v4, vcc
	v_and_b32_e32 v7, 0xffff, v1
	v_mul_lo_u16_e32 v1, s28, v1
	v_sub_u16_e32 v6, v0, v1
	s_and_b64 vcc, exec, s[8:9]
	s_cbranch_vccz .LBB30_60
; %bb.55:
	s_mov_b64 s[14:15], 0
	s_mov_b64 s[10:11], 0
                                        ; implicit-def: $vgpr0_vgpr1
                                        ; implicit-def: $vgpr4
	s_and_saveexec_b64 s[16:17], s[6:7]
	s_cbranch_execz .LBB30_59
; %bb.56:
	v_lshlrev_b32_e32 v4, 8, v7
	v_lshlrev_b32_e32 v5, 4, v6
	v_sub_u32_e32 v8, 0x3ff0, v4
	v_mov_b64_e32 v[0:1], 0
	s_mov_b32 s18, -1
	v_mov_b64_e32 v[2:3], 0
.LBB30_57:                              ; =>This Inner Loop Header: Depth=1
	ds_read_b128 v[14:17], v8
	ds_read_b128 v[18:21], v5
	s_add_i32 s18, s18, 1
	v_cmp_ge_u32_e32 vcc, s18, v7
	v_add_u32_e32 v8, -16, v8
	v_add_u32_e32 v5, 0x100, v5
	s_waitcnt lgkmcnt(0)
	v_mul_f64 v[22:23], v[16:17], v[20:21]
	v_mul_f64 v[20:21], v[14:15], v[20:21]
	v_fma_f64 v[14:15], v[14:15], v[18:19], -v[22:23]
	v_fmac_f64_e32 v[20:21], v[16:17], v[18:19]
	s_or_b64 s[10:11], vcc, s[10:11]
	v_add_f64 v[2:3], v[2:3], v[14:15]
	v_add_f64 v[0:1], v[0:1], v[20:21]
	s_andn2_b64 exec, exec, s[10:11]
	s_cbranch_execnz .LBB30_57
; %bb.58:
	s_or_b64 exec, exec, s[10:11]
	v_lshl_add_u32 v5, v6, 4, v4
	s_mov_b64 s[10:11], exec
	v_add_u32_e32 v4, 0x1000, v5
	ds_write_b64 v5, v[2:3] offset:4096
.LBB30_59:
	s_or_b64 exec, exec, s[16:17]
	s_and_b64 vcc, exec, s[14:15]
	s_cbranch_vccnz .LBB30_61
	s_branch .LBB30_70
.LBB30_60:
	s_mov_b64 s[10:11], 0
                                        ; implicit-def: $vgpr0_vgpr1
                                        ; implicit-def: $vgpr4
	s_cbranch_execz .LBB30_70
.LBB30_61:
                                        ; implicit-def: $vgpr0_vgpr1
                                        ; implicit-def: $vgpr4
	s_and_saveexec_b64 s[14:15], s[6:7]
	s_cbranch_execz .LBB30_69
; %bb.62:
	v_cmp_lt_u16_e32 vcc, 15, v7
	v_lshlrev_b32_e32 v4, 8, v7
	s_and_saveexec_b64 s[16:17], vcc
	s_xor_b64 s[16:17], exec, s[16:17]
; %bb.63:
	v_lshlrev_b32_e32 v4, 8, v7
; %bb.64:
	s_or_saveexec_b64 s[16:17], s[16:17]
	v_mov_b64_e32 v[0:1], 0
	v_mov_b64_e32 v[2:3], 0
	s_xor_b64 exec, exec, s[16:17]
	s_cbranch_execz .LBB30_68
; %bb.65:
	s_movk_i32 s18, 0x110
	v_mov_b32_e32 v0, 0x2000
	v_add_u32_e32 v5, -1, v7
	v_mad_u32_u24 v8, v7, s18, v0
	v_lshl_add_u32 v9, v6, 4, v4
	v_mov_b64_e32 v[0:1], 0
	s_mov_b64 s[18:19], 0
	v_mov_b64_e32 v[2:3], 0
.LBB30_66:                              ; =>This Inner Loop Header: Depth=1
	ds_read_b128 v[14:17], v8
	ds_read_b128 v[18:21], v9
	v_add_u32_e32 v5, 1, v5
	v_cmp_lt_u32_e32 vcc, 14, v5
	v_add_u32_e32 v8, 16, v8
	v_add_u32_e32 v9, 0x100, v9
	s_waitcnt lgkmcnt(0)
	v_mul_f64 v[22:23], v[16:17], v[20:21]
	v_mul_f64 v[20:21], v[14:15], v[20:21]
	v_fma_f64 v[14:15], v[14:15], v[18:19], -v[22:23]
	v_fmac_f64_e32 v[20:21], v[16:17], v[18:19]
	s_or_b64 s[18:19], vcc, s[18:19]
	v_add_f64 v[2:3], v[2:3], v[14:15]
	v_add_f64 v[0:1], v[0:1], v[20:21]
	s_andn2_b64 exec, exec, s[18:19]
	s_cbranch_execnz .LBB30_66
; %bb.67:
	s_or_b64 exec, exec, s[18:19]
.LBB30_68:
	s_or_b64 exec, exec, s[16:17]
	v_lshl_add_u32 v5, v6, 4, v4
	v_add_u32_e32 v4, 0x1000, v5
	ds_write_b64 v5, v[2:3] offset:4096
	s_or_b64 s[10:11], s[10:11], exec
.LBB30_69:
	s_or_b64 exec, exec, s[14:15]
.LBB30_70:
	s_and_saveexec_b64 s[14:15], s[10:11]
; %bb.71:
	ds_write_b64 v4, v[0:1] offset:8
; %bb.72:
	s_or_b64 exec, exec, s[14:15]
	s_load_dword s10, s[0:1], 0x48
	s_load_dwordx2 s[18:19], s[0:1], 0x58
	s_lshl_b64 s[14:15], s[20:21], 4
	s_waitcnt lgkmcnt(0)
	s_barrier
	s_ashr_i32 s11, s10, 31
	s_add_u32 s20, s12, s14
	s_addc_u32 s21, s13, s15
	s_lshl_b64 s[0:1], s[10:11], 5
	s_add_u32 s0, s0, 32
	s_addc_u32 s1, s1, 0
	s_mul_hi_u32 s16, s0, s31
	s_mul_i32 s1, s1, s31
	s_add_i32 s1, s16, s1
	s_mul_i32 s0, s0, s31
	s_lshl_b64 s[16:17], s[0:1], 4
	s_add_u32 s20, s20, s16
	s_mul_i32 s0, s19, s30
	s_mul_hi_u32 s1, s18, s30
	s_addc_u32 s21, s21, s17
	s_add_i32 s1, s1, s0
	s_mul_i32 s0, s18, s30
	s_lshl_b64 s[18:19], s[0:1], 4
	s_add_u32 s0, s20, s18
	s_addc_u32 s1, s21, s19
	s_and_b64 vcc, exec, s[8:9]
	s_cbranch_vccz .LBB30_78
; %bb.73:
	s_mov_b64 s[22:23], 0
	s_mov_b64 s[20:21], 0
                                        ; implicit-def: $vgpr0_vgpr1
                                        ; implicit-def: $vgpr2_vgpr3
	s_and_saveexec_b64 s[24:25], s[6:7]
	s_cbranch_execz .LBB30_77
; %bb.74:
	v_mul_u32_u24_e32 v0, s28, v7
	v_lshlrev_b32_e32 v0, 4, v0
	v_lshlrev_b32_e32 v2, 4, v6
	s_movk_i32 s20, 0x1000
	v_add3_u32 v8, v0, v2, s20
	s_lshl_b32 s20, s28, 4
	v_sub_u32_e32 v0, s20, v2
	v_mul_i32_i24_e32 v0, s28, v0
	v_sub_u32_e32 v0, v0, v2
	v_add_u32_e32 v3, -1, v6
	v_add_u32_e32 v9, 0x1ff0, v0
	s_sub_i32 s26, 0, s20
	v_mov_b64_e32 v[4:5], 0
	s_mov_b64 s[20:21], 0
	v_mov_b64_e32 v[0:1], 0
.LBB30_75:                              ; =>This Inner Loop Header: Depth=1
	ds_read_b128 v[14:17], v9
	ds_read_b128 v[18:21], v8
	v_add_u32_e32 v3, 1, v3
	v_cmp_lt_u32_e32 vcc, 14, v3
	v_add_u32_e32 v8, 16, v8
	v_add_u32_e32 v9, s26, v9
	s_waitcnt lgkmcnt(0)
	v_mul_f64 v[22:23], v[14:15], v[18:19]
	v_mul_f64 v[14:15], v[14:15], v[20:21]
	v_fma_f64 v[20:21], v[16:17], v[20:21], -v[22:23]
	v_fma_f64 v[14:15], v[18:19], -v[16:17], -v[14:15]
	s_or_b64 s[20:21], vcc, s[20:21]
	v_add_f64 v[4:5], v[4:5], v[20:21]
	v_add_f64 v[0:1], v[0:1], v[14:15]
	s_andn2_b64 exec, exec, s[20:21]
	s_cbranch_execnz .LBB30_75
; %bb.76:
	s_or_b64 exec, exec, s[20:21]
	s_mul_hi_i32 s27, s28, s10
	s_mul_i32 s26, s28, s10
	s_lshl_b64 s[26:27], s[26:27], 4
	s_add_u32 s26, s0, s26
	s_addc_u32 s27, s1, s27
	v_mov_b32_e32 v3, 0
	v_mad_i64_i32 v[8:9], s[30:31], v7, s10, 0
	v_lshl_add_u64 v[2:3], s[26:27], 0, v[2:3]
	s_mov_b64 s[20:21], exec
	v_lshl_add_u64 v[2:3], v[8:9], 4, v[2:3]
	flat_store_dwordx2 v[2:3], v[4:5]
.LBB30_77:
	s_or_b64 exec, exec, s[24:25]
	s_and_b64 vcc, exec, s[22:23]
	s_cbranch_vccnz .LBB30_79
	s_branch .LBB30_84
.LBB30_78:
	s_mov_b64 s[20:21], 0
                                        ; implicit-def: $vgpr0_vgpr1
                                        ; implicit-def: $vgpr2_vgpr3
	s_cbranch_execz .LBB30_84
.LBB30_79:
                                        ; implicit-def: $vgpr0_vgpr1
                                        ; implicit-def: $vgpr2_vgpr3
	s_and_saveexec_b64 s[22:23], s[6:7]
	s_cbranch_execz .LBB30_83
; %bb.80:
	v_mov_b32_e32 v0, 0x3000
	v_lshl_add_u32 v2, v6, 4, v0
	v_mul_u32_u24_e32 v0, s28, v7
	v_mov_b32_e32 v1, 0x1000
	v_lshl_add_u32 v3, v0, 4, v1
	s_lshl_b32 s24, s28, 4
	v_mov_b64_e32 v[4:5], 0
	s_mov_b32 s25, -1
	s_mov_b64 s[6:7], 0
	v_mov_b64_e32 v[0:1], 0
.LBB30_81:                              ; =>This Inner Loop Header: Depth=1
	ds_read_b128 v[14:17], v2
	ds_read_b128 v[18:21], v3
	s_add_i32 s25, s25, 1
	v_cmp_ge_u32_e32 vcc, s25, v6
	v_add_u32_e32 v3, 16, v3
	v_add_u32_e32 v2, s24, v2
	s_waitcnt lgkmcnt(0)
	v_mul_f64 v[8:9], v[14:15], v[18:19]
	v_mul_f64 v[14:15], v[14:15], v[20:21]
	v_fma_f64 v[8:9], v[16:17], v[20:21], -v[8:9]
	v_fma_f64 v[14:15], v[18:19], -v[16:17], -v[14:15]
	s_or_b64 s[6:7], vcc, s[6:7]
	v_add_f64 v[4:5], v[4:5], v[8:9]
	v_add_f64 v[0:1], v[0:1], v[14:15]
	s_andn2_b64 exec, exec, s[6:7]
	s_cbranch_execnz .LBB30_81
; %bb.82:
	s_or_b64 exec, exec, s[6:7]
	v_mad_i64_i32 v[2:3], s[6:7], v7, s10, 0
	v_lshl_add_u64 v[2:3], v[2:3], 4, s[0:1]
	v_add_lshl_u32 v6, s28, v6, 4
	v_mov_b32_e32 v7, 0
	v_lshl_add_u64 v[2:3], v[2:3], 0, v[6:7]
	s_or_b64 s[20:21], s[20:21], exec
	flat_store_dwordx2 v[2:3], v[4:5]
.LBB30_83:
	s_or_b64 exec, exec, s[22:23]
.LBB30_84:
	s_and_saveexec_b64 s[6:7], s[20:21]
	s_cbranch_execz .LBB30_86
; %bb.85:
	flat_store_dwordx2 v[2:3], v[0:1] offset:8
.LBB30_86:
	s_or_b64 exec, exec, s[6:7]
	s_and_saveexec_b64 s[6:7], s[2:3]
	s_cbranch_execz .LBB30_98
; %bb.87:
	v_mov_b64_e32 v[0:1], 0
	s_and_saveexec_b64 s[2:3], s[4:5]
	s_cbranch_execnz .LBB30_90
; %bb.88:
	s_or_b64 exec, exec, s[2:3]
	s_mov_b64 s[2:3], -1
	s_and_b64 vcc, exec, s[8:9]
	s_cbranch_vccnz .LBB30_91
.LBB30_89:
	s_andn2_b64 vcc, exec, s[2:3]
	s_cbranch_vccz .LBB30_95
	s_branch .LBB30_98
.LBB30_90:
	s_add_u32 s4, s10, 1
	s_addc_u32 s5, s11, 0
	s_mul_i32 s5, s5, s28
	s_mul_hi_u32 s6, s4, s28
	s_add_i32 s5, s6, s5
	s_mul_i32 s4, s4, s28
	v_mov_b64_e32 v[0:1], s[4:5]
	s_or_b64 exec, exec, s[2:3]
	s_mov_b64 s[2:3], -1
	s_and_b64 vcc, exec, s[8:9]
	s_cbranch_vccz .LBB30_89
.LBB30_91:
	v_cmp_gt_i32_e32 vcc, s28, v10
	s_and_saveexec_b64 s[2:3], vcc
	s_cbranch_execz .LBB30_94
; %bb.92:
	s_cmp_lt_u32 s29, 16
	s_cselect_b32 s5, s29, 16
	s_cselect_b32 s4, 0, 0
	s_add_u32 s6, s5, -1
	s_addc_u32 s4, s4, -1
	s_mul_i32 s5, s6, s11
	s_mul_hi_u32 s7, s6, s10
	s_add_i32 s5, s7, s5
	s_mul_i32 s4, s4, s10
	s_add_i32 s5, s5, s4
	s_mul_i32 s4, s6, s10
	s_lshl_b64 s[4:5], s[4:5], 4
	s_add_u32 s4, s4, s18
	s_addc_u32 s5, s5, s19
	s_add_u32 s4, s4, s16
	s_addc_u32 s5, s5, s17
	s_add_u32 s4, s14, s4
	v_xad_u32 v2, v10, -1, s28
	s_addc_u32 s5, s15, s5
	v_lshl_add_u32 v4, v2, 4, v12
	v_ashrrev_i32_e32 v11, 31, v10
	v_lshl_add_u64 v[2:3], v[0:1], 4, s[4:5]
	s_lshl_b64 s[6:7], s[10:11], 4
	v_lshl_add_u64 v[2:3], v[10:11], 4, v[2:3]
	s_sub_u32 s6, 0, s6
	v_lshl_add_u64 v[2:3], s[12:13], 0, v[2:3]
	s_mov_b64 s[4:5], 0
	s_subb_u32 s7, 0, s7
	s_lshl_b32 s8, s28, 4
	s_mov_b32 s9, s28
.LBB30_93:                              ; =>This Inner Loop Header: Depth=1
	ds_read2_b64 v[6:9], v4 offset1:1
	s_add_i32 s9, s9, -1
	v_cmp_le_i32_e32 vcc, s9, v10
	v_add_u32_e32 v4, s8, v4
	s_or_b64 s[4:5], vcc, s[4:5]
	s_waitcnt lgkmcnt(0)
	flat_store_dwordx4 v[2:3], v[6:9]
	v_lshl_add_u64 v[2:3], v[2:3], 0, s[6:7]
	s_andn2_b64 exec, exec, s[4:5]
	s_cbranch_execnz .LBB30_93
.LBB30_94:
	s_or_b64 exec, exec, s[2:3]
	s_cbranch_execnz .LBB30_98
.LBB30_95:
	v_cmp_lt_i32_e32 vcc, -1, v10
	s_and_b64 exec, exec, vcc
	s_cbranch_execz .LBB30_98
; %bb.96:
	v_mov_b32_e32 v11, 0
	v_lshl_add_u64 v[0:1], v[0:1], 4, s[0:1]
	v_lshl_add_u32 v2, v10, 4, v12
	v_lshl_add_u64 v[0:1], v[10:11], 4, v[0:1]
	v_add_u32_e32 v3, 1, v10
	s_lshl_b64 s[0:1], s[10:11], 4
	s_lshl_b32 s4, s28, 4
	s_mov_b64 s[2:3], 0
.LBB30_97:                              ; =>This Inner Loop Header: Depth=1
	ds_read2_b64 v[4:7], v2 offset1:1
	v_add_u32_e32 v3, -1, v3
	v_cmp_eq_u32_e32 vcc, 0, v3
	v_add_u32_e32 v2, s4, v2
	s_or_b64 s[2:3], vcc, s[2:3]
	s_waitcnt lgkmcnt(0)
	flat_store_dwordx4 v[0:1], v[4:7]
	v_lshl_add_u64 v[0:1], v[0:1], 0, s[0:1]
	s_andn2_b64 exec, exec, s[2:3]
	s_cbranch_execnz .LBB30_97
.LBB30_98:
	s_endpgm
	.section	.rodata,"a",@progbits
	.p2align	6, 0x0
	.amdhsa_kernel _ZL29rocblas_trtri_diagonal_kernelILi16E19rocblas_complex_numIdEPKPKS1_PKPS1_Ev13rocblas_fill_17rocblas_diagonal_iT1_lillT2_lilli
		.amdhsa_group_segment_fixed_size 16384
		.amdhsa_private_segment_fixed_size 0
		.amdhsa_kernarg_size 100
		.amdhsa_user_sgpr_count 2
		.amdhsa_user_sgpr_dispatch_ptr 0
		.amdhsa_user_sgpr_queue_ptr 0
		.amdhsa_user_sgpr_kernarg_segment_ptr 1
		.amdhsa_user_sgpr_dispatch_id 0
		.amdhsa_user_sgpr_kernarg_preload_length 0
		.amdhsa_user_sgpr_kernarg_preload_offset 0
		.amdhsa_user_sgpr_private_segment_size 0
		.amdhsa_uses_dynamic_stack 0
		.amdhsa_enable_private_segment 0
		.amdhsa_system_sgpr_workgroup_id_x 1
		.amdhsa_system_sgpr_workgroup_id_y 0
		.amdhsa_system_sgpr_workgroup_id_z 1
		.amdhsa_system_sgpr_workgroup_info 0
		.amdhsa_system_vgpr_workitem_id 0
		.amdhsa_next_free_vgpr 24
		.amdhsa_next_free_sgpr 40
		.amdhsa_accum_offset 24
		.amdhsa_reserve_vcc 1
		.amdhsa_float_round_mode_32 0
		.amdhsa_float_round_mode_16_64 0
		.amdhsa_float_denorm_mode_32 3
		.amdhsa_float_denorm_mode_16_64 3
		.amdhsa_dx10_clamp 1
		.amdhsa_ieee_mode 1
		.amdhsa_fp16_overflow 0
		.amdhsa_tg_split 0
		.amdhsa_exception_fp_ieee_invalid_op 0
		.amdhsa_exception_fp_denorm_src 0
		.amdhsa_exception_fp_ieee_div_zero 0
		.amdhsa_exception_fp_ieee_overflow 0
		.amdhsa_exception_fp_ieee_underflow 0
		.amdhsa_exception_fp_ieee_inexact 0
		.amdhsa_exception_int_div_zero 0
	.end_amdhsa_kernel
	.section	.text._ZL29rocblas_trtri_diagonal_kernelILi16E19rocblas_complex_numIdEPKPKS1_PKPS1_Ev13rocblas_fill_17rocblas_diagonal_iT1_lillT2_lilli,"axG",@progbits,_ZL29rocblas_trtri_diagonal_kernelILi16E19rocblas_complex_numIdEPKPKS1_PKPS1_Ev13rocblas_fill_17rocblas_diagonal_iT1_lillT2_lilli,comdat
.Lfunc_end30:
	.size	_ZL29rocblas_trtri_diagonal_kernelILi16E19rocblas_complex_numIdEPKPKS1_PKPS1_Ev13rocblas_fill_17rocblas_diagonal_iT1_lillT2_lilli, .Lfunc_end30-_ZL29rocblas_trtri_diagonal_kernelILi16E19rocblas_complex_numIdEPKPKS1_PKPS1_Ev13rocblas_fill_17rocblas_diagonal_iT1_lillT2_lilli
                                        ; -- End function
	.set _ZL29rocblas_trtri_diagonal_kernelILi16E19rocblas_complex_numIdEPKPKS1_PKPS1_Ev13rocblas_fill_17rocblas_diagonal_iT1_lillT2_lilli.num_vgpr, 24
	.set _ZL29rocblas_trtri_diagonal_kernelILi16E19rocblas_complex_numIdEPKPKS1_PKPS1_Ev13rocblas_fill_17rocblas_diagonal_iT1_lillT2_lilli.num_agpr, 0
	.set _ZL29rocblas_trtri_diagonal_kernelILi16E19rocblas_complex_numIdEPKPKS1_PKPS1_Ev13rocblas_fill_17rocblas_diagonal_iT1_lillT2_lilli.numbered_sgpr, 40
	.set _ZL29rocblas_trtri_diagonal_kernelILi16E19rocblas_complex_numIdEPKPKS1_PKPS1_Ev13rocblas_fill_17rocblas_diagonal_iT1_lillT2_lilli.num_named_barrier, 0
	.set _ZL29rocblas_trtri_diagonal_kernelILi16E19rocblas_complex_numIdEPKPKS1_PKPS1_Ev13rocblas_fill_17rocblas_diagonal_iT1_lillT2_lilli.private_seg_size, 0
	.set _ZL29rocblas_trtri_diagonal_kernelILi16E19rocblas_complex_numIdEPKPKS1_PKPS1_Ev13rocblas_fill_17rocblas_diagonal_iT1_lillT2_lilli.uses_vcc, 1
	.set _ZL29rocblas_trtri_diagonal_kernelILi16E19rocblas_complex_numIdEPKPKS1_PKPS1_Ev13rocblas_fill_17rocblas_diagonal_iT1_lillT2_lilli.uses_flat_scratch, 0
	.set _ZL29rocblas_trtri_diagonal_kernelILi16E19rocblas_complex_numIdEPKPKS1_PKPS1_Ev13rocblas_fill_17rocblas_diagonal_iT1_lillT2_lilli.has_dyn_sized_stack, 0
	.set _ZL29rocblas_trtri_diagonal_kernelILi16E19rocblas_complex_numIdEPKPKS1_PKPS1_Ev13rocblas_fill_17rocblas_diagonal_iT1_lillT2_lilli.has_recursion, 0
	.set _ZL29rocblas_trtri_diagonal_kernelILi16E19rocblas_complex_numIdEPKPKS1_PKPS1_Ev13rocblas_fill_17rocblas_diagonal_iT1_lillT2_lilli.has_indirect_call, 0
	.section	.AMDGPU.csdata,"",@progbits
; Kernel info:
; codeLenInByte = 3684
; TotalNumSgprs: 46
; NumVgprs: 24
; NumAgprs: 0
; TotalNumVgprs: 24
; ScratchSize: 0
; MemoryBound: 1
; FloatMode: 240
; IeeeMode: 1
; LDSByteSize: 16384 bytes/workgroup (compile time only)
; SGPRBlocks: 5
; VGPRBlocks: 2
; NumSGPRsForWavesPerEU: 46
; NumVGPRsForWavesPerEU: 24
; AccumOffset: 24
; Occupancy: 8
; WaveLimiterHint : 1
; COMPUTE_PGM_RSRC2:SCRATCH_EN: 0
; COMPUTE_PGM_RSRC2:USER_SGPR: 2
; COMPUTE_PGM_RSRC2:TRAP_HANDLER: 0
; COMPUTE_PGM_RSRC2:TGID_X_EN: 1
; COMPUTE_PGM_RSRC2:TGID_Y_EN: 0
; COMPUTE_PGM_RSRC2:TGID_Z_EN: 1
; COMPUTE_PGM_RSRC2:TIDIG_COMP_CNT: 0
; COMPUTE_PGM_RSRC3_GFX90A:ACCUM_OFFSET: 5
; COMPUTE_PGM_RSRC3_GFX90A:TG_SPLIT: 0
	.section	.text._ZL30rocblas_trtri_remainder_kernelILi16E19rocblas_complex_numIdEPKPKS1_PKPS1_Ev13rocblas_fill_17rocblas_diagonal_iT1_lillT2_lilli,"axG",@progbits,_ZL30rocblas_trtri_remainder_kernelILi16E19rocblas_complex_numIdEPKPKS1_PKPS1_Ev13rocblas_fill_17rocblas_diagonal_iT1_lillT2_lilli,comdat
	.globl	_ZL30rocblas_trtri_remainder_kernelILi16E19rocblas_complex_numIdEPKPKS1_PKPS1_Ev13rocblas_fill_17rocblas_diagonal_iT1_lillT2_lilli ; -- Begin function _ZL30rocblas_trtri_remainder_kernelILi16E19rocblas_complex_numIdEPKPKS1_PKPS1_Ev13rocblas_fill_17rocblas_diagonal_iT1_lillT2_lilli
	.p2align	8
	.type	_ZL30rocblas_trtri_remainder_kernelILi16E19rocblas_complex_numIdEPKPKS1_PKPS1_Ev13rocblas_fill_17rocblas_diagonal_iT1_lillT2_lilli,@function
_ZL30rocblas_trtri_remainder_kernelILi16E19rocblas_complex_numIdEPKPKS1_PKPS1_Ev13rocblas_fill_17rocblas_diagonal_iT1_lillT2_lilli: ; @_ZL30rocblas_trtri_remainder_kernelILi16E19rocblas_complex_numIdEPKPKS1_PKPS1_Ev13rocblas_fill_17rocblas_diagonal_iT1_lillT2_lilli
; %bb.0:
	s_load_dwordx4 s[8:11], s[0:1], 0x0
	s_waitcnt lgkmcnt(0)
	s_cmp_lt_i32 s10, 1
	s_cbranch_scc1 .LBB31_41
; %bb.1:
	s_load_dwordx4 s[16:19], s[0:1], 0x30
	s_load_dwordx2 s[20:21], s[0:1], 0x40
	s_mov_b32 s4, s3
	s_mov_b32 s5, 0
	s_lshl_b64 s[26:27], s[4:5], 3
	s_waitcnt lgkmcnt(0)
	s_add_u32 s4, s18, s26
	s_addc_u32 s5, s19, s27
	s_load_dwordx2 s[18:19], s[4:5], 0x0
	v_cmp_le_u32_e64 s[4:5], s10, v0
	v_cmp_gt_u32_e64 s[6:7], s10, v0
	s_and_saveexec_b64 s[22:23], s[6:7]
	s_cbranch_execz .LBB31_9
; %bb.2:
	s_load_dwordx4 s[12:15], s[0:1], 0x10
	s_load_dword s24, s[0:1], 0x20
	s_mul_i32 s3, s17, s2
	s_mul_hi_u32 s11, s16, s2
	s_mul_i32 s16, s16, s2
	s_waitcnt lgkmcnt(0)
	s_add_u32 s12, s12, s26
	s_addc_u32 s13, s13, s27
	s_load_dwordx2 s[12:13], s[12:13], 0x0
	s_add_i32 s17, s11, s3
	s_cmpk_lg_i32 s8, 0x7a
	s_mov_b64 s[26:27], -1
	s_cbranch_scc0 .LBB31_6
; %bb.3:
	s_add_i32 s11, s10, -1
	s_ashr_i32 s25, s24, 31
	s_mul_i32 s28, s25, s11
	s_mul_hi_u32 s29, s24, s11
	s_add_i32 s29, s29, s28
	s_mul_i32 s28, s24, s11
	s_lshl_b32 s3, s10, 4
	s_lshl_b64 s[26:27], s[16:17], 4
	s_lshl_b64 s[28:29], s[28:29], 4
	v_sub_u32_e32 v1, s11, v0
	s_add_u32 s11, s26, s28
	s_addc_u32 s28, s27, s29
	s_lshl_b64 s[26:27], s[14:15], 4
	s_add_u32 s11, s11, s26
	s_addc_u32 s27, s28, s27
	s_waitcnt lgkmcnt(0)
	s_add_u32 s26, s12, s11
	s_addc_u32 s27, s13, s27
	s_lshl_b64 s[28:29], s[24:25], 4
	v_lshlrev_b32_e32 v2, 4, v0
	v_mov_b32_e32 v3, 0
	s_sub_u32 s28, 0, s28
	v_lshlrev_b32_e32 v1, 4, v1
	v_lshl_add_u64 v[2:3], s[26:27], 0, v[2:3]
	s_mov_b64 s[26:27], 0
	s_subb_u32 s29, 0, s29
	s_mov_b32 s11, s10
.LBB31_4:                               ; =>This Inner Loop Header: Depth=1
	flat_load_dwordx4 v[4:7], v[2:3]
	s_add_i32 s11, s11, -1
	v_cmp_le_u32_e32 vcc, s11, v0
	v_lshl_add_u64 v[2:3], v[2:3], 0, s[28:29]
	s_or_b64 s[26:27], vcc, s[26:27]
	s_waitcnt vmcnt(0) lgkmcnt(0)
	ds_write2_b64 v1, v[4:5], v[6:7] offset1:1
	v_add_u32_e32 v1, s3, v1
	s_andn2_b64 exec, exec, s[26:27]
	s_cbranch_execnz .LBB31_4
; %bb.5:
	s_or_b64 exec, exec, s[26:27]
	s_mov_b64 s[26:27], 0
.LBB31_6:
	s_and_b64 vcc, exec, s[26:27]
	s_cbranch_vccz .LBB31_9
; %bb.7:
	s_lshl_b64 s[14:15], s[14:15], 4
	s_waitcnt lgkmcnt(0)
	s_add_u32 s3, s12, s14
	s_addc_u32 s11, s13, s15
	s_lshl_b64 s[12:13], s[16:17], 4
	s_add_u32 s12, s3, s12
	s_addc_u32 s13, s11, s13
	s_ashr_i32 s25, s24, 31
	v_lshlrev_b32_e32 v2, 4, v0
	v_mov_b32_e32 v3, 0
	v_lshl_add_u64 v[4:5], s[12:13], 0, v[2:3]
	v_add_u32_e32 v1, 1, v0
	s_lshl_b32 s3, s10, 4
	s_lshl_b64 s[12:13], s[24:25], 4
	s_mov_b64 s[14:15], 0
.LBB31_8:                               ; =>This Inner Loop Header: Depth=1
	flat_load_dwordx4 v[6:9], v[4:5]
	v_add_u32_e32 v1, -1, v1
	v_cmp_eq_u32_e32 vcc, 0, v1
	v_lshl_add_u64 v[4:5], v[4:5], 0, s[12:13]
	s_or_b64 s[14:15], vcc, s[14:15]
	s_waitcnt vmcnt(0) lgkmcnt(0)
	ds_write2_b64 v2, v[6:7], v[8:9] offset1:1
	v_add_u32_e32 v2, s3, v2
	s_andn2_b64 exec, exec, s[14:15]
	s_cbranch_execnz .LBB31_8
.LBB31_9:
	s_or_b64 exec, exec, s[22:23]
	s_waitcnt lgkmcnt(0)
	s_barrier
                                        ; implicit-def: $vgpr10
	s_and_saveexec_b64 s[12:13], s[4:5]
	s_xor_b64 s[4:5], exec, s[12:13]
; %bb.10:
	v_mad_u64_u32 v[10:11], s[12:13], v0, s10, v[0:1]
; %bb.11:
	s_andn2_saveexec_b64 s[12:13], s[4:5]
	s_cbranch_execz .LBB31_22
; %bb.12:
	v_mad_u64_u32 v[10:11], s[4:5], v0, s10, v[0:1]
	s_cmpk_eq_i32 s9, 0x84
	v_lshlrev_b32_e32 v1, 4, v10
	s_cbranch_scc1 .LBB31_20
; %bb.13:
	ds_read_b128 v[2:5], v1
	v_mov_b64_e32 v[8:9], 0
	v_mov_b64_e32 v[6:7], 1.0
	s_waitcnt lgkmcnt(0)
	v_cmp_neq_f64_e32 vcc, 0, v[2:3]
	v_cmp_neq_f64_e64 s[4:5], 0, v[4:5]
	s_or_b64 s[14:15], vcc, s[4:5]
	s_and_saveexec_b64 s[4:5], s[14:15]
	s_cbranch_execz .LBB31_19
; %bb.14:
	v_cmp_ngt_f64_e64 s[14:15], |v[2:3]|, |v[4:5]|
                                        ; implicit-def: $vgpr8_vgpr9
	s_and_saveexec_b64 s[16:17], s[14:15]
	s_xor_b64 s[14:15], exec, s[16:17]
	s_cbranch_execz .LBB31_16
; %bb.15:
	v_div_scale_f64 v[6:7], s[16:17], v[4:5], v[4:5], v[2:3]
	v_rcp_f64_e32 v[8:9], v[6:7]
	v_div_scale_f64 v[12:13], vcc, v[2:3], v[4:5], v[2:3]
	v_fma_f64 v[14:15], -v[6:7], v[8:9], 1.0
	v_fmac_f64_e32 v[8:9], v[8:9], v[14:15]
	v_fma_f64 v[14:15], -v[6:7], v[8:9], 1.0
	v_fmac_f64_e32 v[8:9], v[8:9], v[14:15]
	v_mul_f64 v[14:15], v[12:13], v[8:9]
	v_fma_f64 v[6:7], -v[6:7], v[14:15], v[12:13]
	v_div_fmas_f64 v[6:7], v[6:7], v[8:9], v[14:15]
	v_div_fixup_f64 v[6:7], v[6:7], v[4:5], v[2:3]
	v_fmac_f64_e32 v[4:5], v[2:3], v[6:7]
	v_div_scale_f64 v[2:3], s[16:17], v[4:5], v[4:5], 1.0
	v_rcp_f64_e32 v[8:9], v[2:3]
	s_nop 0
	v_fma_f64 v[12:13], -v[2:3], v[8:9], 1.0
	v_fmac_f64_e32 v[8:9], v[8:9], v[12:13]
	v_fma_f64 v[12:13], -v[2:3], v[8:9], 1.0
	v_fmac_f64_e32 v[8:9], v[8:9], v[12:13]
	v_div_scale_f64 v[12:13], vcc, 1.0, v[4:5], 1.0
	v_mul_f64 v[14:15], v[12:13], v[8:9]
	v_fma_f64 v[2:3], -v[2:3], v[14:15], v[12:13]
	s_nop 1
	v_div_fmas_f64 v[2:3], v[2:3], v[8:9], v[14:15]
	v_div_fixup_f64 v[8:9], v[2:3], v[4:5], 1.0
	v_mul_f64 v[6:7], v[6:7], v[8:9]
	v_xor_b32_e32 v9, 0x80000000, v9
                                        ; implicit-def: $vgpr2_vgpr3
.LBB31_16:
	s_andn2_saveexec_b64 s[14:15], s[14:15]
	s_cbranch_execz .LBB31_18
; %bb.17:
	v_div_scale_f64 v[6:7], s[16:17], v[2:3], v[2:3], v[4:5]
	v_rcp_f64_e32 v[8:9], v[6:7]
	v_div_scale_f64 v[12:13], vcc, v[4:5], v[2:3], v[4:5]
	v_fma_f64 v[14:15], -v[6:7], v[8:9], 1.0
	v_fmac_f64_e32 v[8:9], v[8:9], v[14:15]
	v_fma_f64 v[14:15], -v[6:7], v[8:9], 1.0
	v_fmac_f64_e32 v[8:9], v[8:9], v[14:15]
	v_mul_f64 v[14:15], v[12:13], v[8:9]
	v_fma_f64 v[6:7], -v[6:7], v[14:15], v[12:13]
	v_div_fmas_f64 v[6:7], v[6:7], v[8:9], v[14:15]
	v_div_fixup_f64 v[8:9], v[6:7], v[2:3], v[4:5]
	v_fmac_f64_e32 v[2:3], v[4:5], v[8:9]
	v_div_scale_f64 v[4:5], s[16:17], v[2:3], v[2:3], 1.0
	v_rcp_f64_e32 v[6:7], v[4:5]
	s_nop 0
	v_fma_f64 v[12:13], -v[4:5], v[6:7], 1.0
	v_fmac_f64_e32 v[6:7], v[6:7], v[12:13]
	v_fma_f64 v[12:13], -v[4:5], v[6:7], 1.0
	v_fmac_f64_e32 v[6:7], v[6:7], v[12:13]
	v_div_scale_f64 v[12:13], vcc, 1.0, v[2:3], 1.0
	v_mul_f64 v[14:15], v[12:13], v[6:7]
	v_fma_f64 v[4:5], -v[4:5], v[14:15], v[12:13]
	s_nop 1
	v_div_fmas_f64 v[4:5], v[4:5], v[6:7], v[14:15]
	v_div_fixup_f64 v[6:7], v[4:5], v[2:3], 1.0
	v_mul_f64 v[8:9], v[8:9], -v[6:7]
.LBB31_18:
	s_or_b64 exec, exec, s[14:15]
.LBB31_19:
	s_or_b64 exec, exec, s[4:5]
	s_branch .LBB31_21
.LBB31_20:
	v_mov_b64_e32 v[8:9], 0
	v_mov_b64_e32 v[6:7], 1.0
.LBB31_21:
	ds_write_b128 v1, v[6:9]
.LBB31_22:
	s_or_b64 exec, exec, s[12:13]
	v_lshlrev_b32_e32 v1, 4, v0
	s_lshl_b32 s9, s10, 4
	v_lshlrev_b32_e32 v6, 4, v10
	v_add_u32_e32 v7, s9, v1
	s_mov_b32 s3, 16
	s_add_i32 s11, s9, 16
	s_mov_b32 s12, 0
	s_waitcnt lgkmcnt(0)
	s_barrier
	s_branch .LBB31_24
.LBB31_23:                              ;   in Loop: Header=BB31_24 Depth=1
	s_add_i32 s3, s3, s11
	s_cmp_eq_u32 s12, s10
	v_add_u32_e32 v7, s9, v7
	s_barrier
	s_cbranch_scc1 .LBB31_33
.LBB31_24:                              ; =>This Loop Header: Depth=1
                                        ;     Child Loop BB31_29 Depth 2
	v_cmp_lt_u32_e32 vcc, s12, v0
	v_mov_b64_e32 v[2:3], 0
	s_mul_i32 s13, s12, s10
	v_mov_b64_e32 v[4:5], 0
	s_and_saveexec_b64 s[4:5], vcc
	s_cbranch_execz .LBB31_26
; %bb.25:                               ;   in Loop: Header=BB31_24 Depth=1
	s_lshl_b32 s14, s13, 4
	s_lshl_b32 s15, s12, 4
	v_add_u32_e32 v8, s14, v1
	s_add_i32 s14, s15, s14
	v_mov_b32_e32 v2, s14
	ds_read_b128 v[2:5], v2
	ds_read_b128 v[8:11], v8
	s_waitcnt lgkmcnt(0)
	v_mul_f64 v[12:13], v[4:5], v[10:11]
	v_mul_f64 v[10:11], v[2:3], v[10:11]
	v_fma_f64 v[2:3], v[2:3], v[8:9], -v[12:13]
	v_fmac_f64_e32 v[10:11], v[4:5], v[8:9]
	v_add_f64 v[2:3], v[2:3], 0
	v_add_f64 v[4:5], v[10:11], 0
.LBB31_26:                              ;   in Loop: Header=BB31_24 Depth=1
	s_or_b64 exec, exec, s[4:5]
	s_add_i32 s12, s12, 1
	s_cmp_ge_i32 s12, s10
	s_barrier
	s_cbranch_scc1 .LBB31_23
; %bb.27:                               ;   in Loop: Header=BB31_24 Depth=1
	v_lshl_add_u32 v8, s13, 4, v1
	s_mov_b32 s13, s3
	v_mov_b32_e32 v9, v7
	s_mov_b32 s14, s12
	s_branch .LBB31_29
.LBB31_28:                              ;   in Loop: Header=BB31_29 Depth=2
	s_or_b64 exec, exec, s[4:5]
	s_add_i32 s14, s14, 1
	s_add_i32 s13, s13, 16
	s_cmp_eq_u32 s10, s14
	v_add_u32_e32 v9, s9, v9
	s_barrier
	s_cbranch_scc1 .LBB31_23
.LBB31_29:                              ;   Parent Loop BB31_24 Depth=1
                                        ; =>  This Inner Loop Header: Depth=2
	v_cmp_eq_u32_e32 vcc, s14, v0
	s_and_saveexec_b64 s[4:5], vcc
	s_cbranch_execz .LBB31_31
; %bb.30:                               ;   in Loop: Header=BB31_29 Depth=2
	ds_read_b128 v[10:13], v6
	v_add_f64 v[16:17], -v[2:3], 0
	s_waitcnt lgkmcnt(0)
	v_mul_f64 v[14:15], v[4:5], v[12:13]
	v_mul_f64 v[18:19], v[4:5], v[10:11]
	v_fmac_f64_e32 v[14:15], v[16:17], v[10:11]
	v_fma_f64 v[16:17], v[16:17], v[12:13], -v[18:19]
	ds_write_b128 v8, v[14:17]
.LBB31_31:                              ;   in Loop: Header=BB31_29 Depth=2
	s_or_b64 exec, exec, s[4:5]
	v_cmp_lt_u32_e32 vcc, s14, v0
	s_waitcnt lgkmcnt(0)
	s_barrier
	s_and_saveexec_b64 s[4:5], vcc
	s_cbranch_execz .LBB31_28
; %bb.32:                               ;   in Loop: Header=BB31_29 Depth=2
	v_mov_b32_e32 v14, s13
	ds_read_b128 v[10:13], v9
	ds_read_b128 v[14:17], v14
	s_waitcnt lgkmcnt(0)
	v_mul_f64 v[18:19], v[16:17], v[12:13]
	v_mul_f64 v[12:13], v[14:15], v[12:13]
	v_fma_f64 v[14:15], v[14:15], v[10:11], -v[18:19]
	v_fmac_f64_e32 v[12:13], v[16:17], v[10:11]
	v_add_f64 v[2:3], v[2:3], v[14:15]
	v_add_f64 v[4:5], v[4:5], v[12:13]
	s_branch .LBB31_28
.LBB31_33:
	s_and_saveexec_b64 s[4:5], s[6:7]
	s_cbranch_execz .LBB31_41
; %bb.34:
	s_load_dwordx2 s[6:7], s[0:1], 0x58
	s_load_dword s4, s[0:1], 0x48
	s_waitcnt lgkmcnt(0)
	s_mul_i32 s0, s7, s2
	s_mul_hi_u32 s1, s6, s2
	s_add_i32 s1, s1, s0
	s_mul_i32 s0, s6, s2
	s_cmpk_lg_i32 s8, 0x7a
	s_mov_b64 s[2:3], -1
	s_cbranch_scc0 .LBB31_38
; %bb.35:
	s_add_i32 s6, s10, -1
	s_ashr_i32 s5, s4, 31
	s_mul_i32 s7, s5, s6
	s_mul_hi_u32 s8, s4, s6
	v_sub_u32_e32 v2, s6, v0
	s_add_i32 s7, s8, s7
	s_mul_i32 s6, s4, s6
	s_lshl_b64 s[2:3], s[0:1], 4
	s_lshl_b64 s[6:7], s[6:7], 4
	s_add_u32 s6, s2, s6
	s_addc_u32 s7, s3, s7
	s_lshl_b64 s[2:3], s[20:21], 4
	s_add_u32 s2, s6, s2
	s_addc_u32 s3, s7, s3
	s_add_u32 s2, s18, s2
	s_addc_u32 s3, s19, s3
	s_lshl_b64 s[6:7], s[4:5], 4
	v_lshlrev_b32_e32 v4, 4, v2
	v_lshlrev_b32_e32 v2, 4, v0
	v_mov_b32_e32 v3, 0
	s_sub_u32 s6, 0, s6
	v_lshl_add_u64 v[2:3], s[2:3], 0, v[2:3]
	s_mov_b64 s[2:3], 0
	s_subb_u32 s7, 0, s7
.LBB31_36:                              ; =>This Inner Loop Header: Depth=1
	ds_read2_b64 v[6:9], v4 offset1:1
	s_add_i32 s10, s10, -1
	v_cmp_le_u32_e32 vcc, s10, v0
	v_add_u32_e32 v4, s9, v4
	s_or_b64 s[2:3], vcc, s[2:3]
	s_waitcnt lgkmcnt(0)
	flat_store_dwordx4 v[2:3], v[6:9]
	v_lshl_add_u64 v[2:3], v[2:3], 0, s[6:7]
	s_andn2_b64 exec, exec, s[2:3]
	s_cbranch_execnz .LBB31_36
; %bb.37:
	s_or_b64 exec, exec, s[2:3]
	s_mov_b64 s[2:3], 0
.LBB31_38:
	s_and_b64 vcc, exec, s[2:3]
	s_cbranch_vccz .LBB31_41
; %bb.39:
	s_lshl_b64 s[2:3], s[20:21], 4
	s_add_u32 s2, s18, s2
	s_addc_u32 s3, s19, s3
	s_lshl_b64 s[0:1], s[0:1], 4
	s_add_u32 s0, s2, s0
	s_addc_u32 s1, s3, s1
	s_ashr_i32 s5, s4, 31
	v_lshlrev_b32_e32 v2, 4, v0
	v_mov_b32_e32 v3, 0
	v_lshl_add_u64 v[2:3], s[0:1], 0, v[2:3]
	v_add_u32_e32 v0, 1, v0
	s_lshl_b64 s[0:1], s[4:5], 4
	s_mov_b64 s[2:3], 0
.LBB31_40:                              ; =>This Inner Loop Header: Depth=1
	ds_read2_b64 v[4:7], v1 offset1:1
	v_add_u32_e32 v0, -1, v0
	v_cmp_eq_u32_e32 vcc, 0, v0
	v_add_u32_e32 v1, s9, v1
	s_or_b64 s[2:3], vcc, s[2:3]
	s_waitcnt lgkmcnt(0)
	flat_store_dwordx4 v[2:3], v[4:7]
	v_lshl_add_u64 v[2:3], v[2:3], 0, s[0:1]
	s_andn2_b64 exec, exec, s[2:3]
	s_cbranch_execnz .LBB31_40
.LBB31_41:
	s_endpgm
	.section	.rodata,"a",@progbits
	.p2align	6, 0x0
	.amdhsa_kernel _ZL30rocblas_trtri_remainder_kernelILi16E19rocblas_complex_numIdEPKPKS1_PKPS1_Ev13rocblas_fill_17rocblas_diagonal_iT1_lillT2_lilli
		.amdhsa_group_segment_fixed_size 16384
		.amdhsa_private_segment_fixed_size 0
		.amdhsa_kernarg_size 100
		.amdhsa_user_sgpr_count 2
		.amdhsa_user_sgpr_dispatch_ptr 0
		.amdhsa_user_sgpr_queue_ptr 0
		.amdhsa_user_sgpr_kernarg_segment_ptr 1
		.amdhsa_user_sgpr_dispatch_id 0
		.amdhsa_user_sgpr_kernarg_preload_length 0
		.amdhsa_user_sgpr_kernarg_preload_offset 0
		.amdhsa_user_sgpr_private_segment_size 0
		.amdhsa_uses_dynamic_stack 0
		.amdhsa_enable_private_segment 0
		.amdhsa_system_sgpr_workgroup_id_x 1
		.amdhsa_system_sgpr_workgroup_id_y 0
		.amdhsa_system_sgpr_workgroup_id_z 1
		.amdhsa_system_sgpr_workgroup_info 0
		.amdhsa_system_vgpr_workitem_id 0
		.amdhsa_next_free_vgpr 20
		.amdhsa_next_free_sgpr 30
		.amdhsa_accum_offset 20
		.amdhsa_reserve_vcc 1
		.amdhsa_float_round_mode_32 0
		.amdhsa_float_round_mode_16_64 0
		.amdhsa_float_denorm_mode_32 3
		.amdhsa_float_denorm_mode_16_64 3
		.amdhsa_dx10_clamp 1
		.amdhsa_ieee_mode 1
		.amdhsa_fp16_overflow 0
		.amdhsa_tg_split 0
		.amdhsa_exception_fp_ieee_invalid_op 0
		.amdhsa_exception_fp_denorm_src 0
		.amdhsa_exception_fp_ieee_div_zero 0
		.amdhsa_exception_fp_ieee_overflow 0
		.amdhsa_exception_fp_ieee_underflow 0
		.amdhsa_exception_fp_ieee_inexact 0
		.amdhsa_exception_int_div_zero 0
	.end_amdhsa_kernel
	.section	.text._ZL30rocblas_trtri_remainder_kernelILi16E19rocblas_complex_numIdEPKPKS1_PKPS1_Ev13rocblas_fill_17rocblas_diagonal_iT1_lillT2_lilli,"axG",@progbits,_ZL30rocblas_trtri_remainder_kernelILi16E19rocblas_complex_numIdEPKPKS1_PKPS1_Ev13rocblas_fill_17rocblas_diagonal_iT1_lillT2_lilli,comdat
.Lfunc_end31:
	.size	_ZL30rocblas_trtri_remainder_kernelILi16E19rocblas_complex_numIdEPKPKS1_PKPS1_Ev13rocblas_fill_17rocblas_diagonal_iT1_lillT2_lilli, .Lfunc_end31-_ZL30rocblas_trtri_remainder_kernelILi16E19rocblas_complex_numIdEPKPKS1_PKPS1_Ev13rocblas_fill_17rocblas_diagonal_iT1_lillT2_lilli
                                        ; -- End function
	.set _ZL30rocblas_trtri_remainder_kernelILi16E19rocblas_complex_numIdEPKPKS1_PKPS1_Ev13rocblas_fill_17rocblas_diagonal_iT1_lillT2_lilli.num_vgpr, 20
	.set _ZL30rocblas_trtri_remainder_kernelILi16E19rocblas_complex_numIdEPKPKS1_PKPS1_Ev13rocblas_fill_17rocblas_diagonal_iT1_lillT2_lilli.num_agpr, 0
	.set _ZL30rocblas_trtri_remainder_kernelILi16E19rocblas_complex_numIdEPKPKS1_PKPS1_Ev13rocblas_fill_17rocblas_diagonal_iT1_lillT2_lilli.numbered_sgpr, 30
	.set _ZL30rocblas_trtri_remainder_kernelILi16E19rocblas_complex_numIdEPKPKS1_PKPS1_Ev13rocblas_fill_17rocblas_diagonal_iT1_lillT2_lilli.num_named_barrier, 0
	.set _ZL30rocblas_trtri_remainder_kernelILi16E19rocblas_complex_numIdEPKPKS1_PKPS1_Ev13rocblas_fill_17rocblas_diagonal_iT1_lillT2_lilli.private_seg_size, 0
	.set _ZL30rocblas_trtri_remainder_kernelILi16E19rocblas_complex_numIdEPKPKS1_PKPS1_Ev13rocblas_fill_17rocblas_diagonal_iT1_lillT2_lilli.uses_vcc, 1
	.set _ZL30rocblas_trtri_remainder_kernelILi16E19rocblas_complex_numIdEPKPKS1_PKPS1_Ev13rocblas_fill_17rocblas_diagonal_iT1_lillT2_lilli.uses_flat_scratch, 0
	.set _ZL30rocblas_trtri_remainder_kernelILi16E19rocblas_complex_numIdEPKPKS1_PKPS1_Ev13rocblas_fill_17rocblas_diagonal_iT1_lillT2_lilli.has_dyn_sized_stack, 0
	.set _ZL30rocblas_trtri_remainder_kernelILi16E19rocblas_complex_numIdEPKPKS1_PKPS1_Ev13rocblas_fill_17rocblas_diagonal_iT1_lillT2_lilli.has_recursion, 0
	.set _ZL30rocblas_trtri_remainder_kernelILi16E19rocblas_complex_numIdEPKPKS1_PKPS1_Ev13rocblas_fill_17rocblas_diagonal_iT1_lillT2_lilli.has_indirect_call, 0
	.section	.AMDGPU.csdata,"",@progbits
; Kernel info:
; codeLenInByte = 1704
; TotalNumSgprs: 36
; NumVgprs: 20
; NumAgprs: 0
; TotalNumVgprs: 20
; ScratchSize: 0
; MemoryBound: 0
; FloatMode: 240
; IeeeMode: 1
; LDSByteSize: 16384 bytes/workgroup (compile time only)
; SGPRBlocks: 4
; VGPRBlocks: 2
; NumSGPRsForWavesPerEU: 36
; NumVGPRsForWavesPerEU: 20
; AccumOffset: 20
; Occupancy: 8
; WaveLimiterHint : 0
; COMPUTE_PGM_RSRC2:SCRATCH_EN: 0
; COMPUTE_PGM_RSRC2:USER_SGPR: 2
; COMPUTE_PGM_RSRC2:TRAP_HANDLER: 0
; COMPUTE_PGM_RSRC2:TGID_X_EN: 1
; COMPUTE_PGM_RSRC2:TGID_Y_EN: 0
; COMPUTE_PGM_RSRC2:TGID_Z_EN: 1
; COMPUTE_PGM_RSRC2:TIDIG_COMP_CNT: 0
; COMPUTE_PGM_RSRC3_GFX90A:ACCUM_OFFSET: 4
; COMPUTE_PGM_RSRC3_GFX90A:TG_SPLIT: 0
	.section	.AMDGPU.gpr_maximums,"",@progbits
	.set amdgpu.max_num_vgpr, 0
	.set amdgpu.max_num_agpr, 0
	.set amdgpu.max_num_sgpr, 0
	.section	.AMDGPU.csdata,"",@progbits
	.type	__hip_cuid_454ae0fad50d781e,@object ; @__hip_cuid_454ae0fad50d781e
	.section	.bss,"aw",@nobits
	.globl	__hip_cuid_454ae0fad50d781e
__hip_cuid_454ae0fad50d781e:
	.byte	0                               ; 0x0
	.size	__hip_cuid_454ae0fad50d781e, 1

	.ident	"AMD clang version 22.0.0git (https://github.com/RadeonOpenCompute/llvm-project roc-7.2.4 26084 f58b06dce1f9c15707c5f808fd002e18c2accf7e)"
	.section	".note.GNU-stack","",@progbits
	.addrsig
	.addrsig_sym __hip_cuid_454ae0fad50d781e
	.amdgpu_metadata
---
amdhsa.kernels:
  - .agpr_count:     0
    .args:
      - .address_space:  global
        .offset:         0
        .size:           8
        .value_kind:     global_buffer
      - .offset:         8
        .size:           4
        .value_kind:     by_value
      - .offset:         12
        .size:           4
        .value_kind:     by_value
      - .offset:         16
        .size:           8
        .value_kind:     by_value
      - .offset:         24
        .size:           4
        .value_kind:     by_value
      - .offset:         32
        .size:           8
        .value_kind:     by_value
      - .address_space:  global
        .offset:         40
        .size:           8
        .value_kind:     global_buffer
      - .offset:         48
        .size:           8
        .value_kind:     by_value
      - .offset:         56
        .size:           8
        .value_kind:     by_value
      - .offset:         64
        .size:           4
        .value_kind:     by_value
      - .offset:         68
        .size:           4
        .value_kind:     by_value
      - .offset:         72
        .size:           4
        .value_kind:     hidden_block_count_x
      - .offset:         76
        .size:           4
        .value_kind:     hidden_block_count_y
      - .offset:         80
        .size:           4
        .value_kind:     hidden_block_count_z
      - .offset:         84
        .size:           2
        .value_kind:     hidden_group_size_x
      - .offset:         86
        .size:           2
        .value_kind:     hidden_group_size_y
      - .offset:         88
        .size:           2
        .value_kind:     hidden_group_size_z
      - .offset:         90
        .size:           2
        .value_kind:     hidden_remainder_x
      - .offset:         92
        .size:           2
        .value_kind:     hidden_remainder_y
      - .offset:         94
        .size:           2
        .value_kind:     hidden_remainder_z
      - .offset:         112
        .size:           8
        .value_kind:     hidden_global_offset_x
      - .offset:         120
        .size:           8
        .value_kind:     hidden_global_offset_y
      - .offset:         128
        .size:           8
        .value_kind:     hidden_global_offset_z
      - .offset:         136
        .size:           2
        .value_kind:     hidden_grid_dims
    .group_segment_fixed_size: 0
    .kernarg_segment_align: 8
    .kernarg_segment_size: 328
    .language:       OpenCL C
    .language_version:
      - 2
      - 0
    .max_flat_workgroup_size: 128
    .name:           _ZL18rocblas_trtri_fillILi128EfPfEvP15_rocblas_handle13rocblas_fill_ililT1_llii
    .private_segment_fixed_size: 0
    .sgpr_count:     43
    .sgpr_spill_count: 0
    .symbol:         _ZL18rocblas_trtri_fillILi128EfPfEvP15_rocblas_handle13rocblas_fill_ililT1_llii.kd
    .uniform_work_group_size: 1
    .uses_dynamic_stack: false
    .vgpr_count:     27
    .vgpr_spill_count: 0
    .wavefront_size: 64
  - .agpr_count:     0
    .args:
      - .offset:         0
        .size:           4
        .value_kind:     by_value
      - .offset:         4
        .size:           4
        .value_kind:     by_value
      - .offset:         8
        .size:           4
        .value_kind:     by_value
      - .address_space:  global
        .offset:         16
        .size:           8
        .value_kind:     global_buffer
      - .offset:         24
        .size:           8
        .value_kind:     by_value
      - .offset:         32
        .size:           4
        .value_kind:     by_value
      - .offset:         40
        .size:           8
        .value_kind:     by_value
      - .offset:         48
        .size:           8
        .value_kind:     by_value
      - .address_space:  global
        .offset:         56
        .size:           8
        .value_kind:     global_buffer
      - .offset:         64
        .size:           8
        .value_kind:     by_value
      - .offset:         72
        .size:           4
        .value_kind:     by_value
      - .offset:         80
        .size:           8
        .value_kind:     by_value
      - .offset:         88
        .size:           8
        .value_kind:     by_value
      - .offset:         96
        .size:           4
        .value_kind:     by_value
    .group_segment_fixed_size: 1024
    .kernarg_segment_align: 8
    .kernarg_segment_size: 100
    .language:       OpenCL C
    .language_version:
      - 2
      - 0
    .max_flat_workgroup_size: 16
    .name:           _ZL26rocblas_trtri_small_kernelILi16EfPKfPfEv13rocblas_fill_17rocblas_diagonal_iT1_lillT2_lilli
    .private_segment_fixed_size: 0
    .sgpr_count:     53
    .sgpr_spill_count: 0
    .symbol:         _ZL26rocblas_trtri_small_kernelILi16EfPKfPfEv13rocblas_fill_17rocblas_diagonal_iT1_lillT2_lilli.kd
    .uniform_work_group_size: 1
    .uses_dynamic_stack: false
    .vgpr_count:     14
    .vgpr_spill_count: 0
    .wavefront_size: 64
  - .agpr_count:     0
    .args:
      - .offset:         0
        .size:           4
        .value_kind:     by_value
      - .offset:         4
        .size:           4
        .value_kind:     by_value
      - .offset:         8
        .size:           4
        .value_kind:     by_value
      - .address_space:  global
        .offset:         16
        .size:           8
        .value_kind:     global_buffer
      - .offset:         24
        .size:           8
        .value_kind:     by_value
      - .offset:         32
        .size:           4
        .value_kind:     by_value
      - .offset:         40
        .size:           8
        .value_kind:     by_value
      - .offset:         48
        .size:           8
        .value_kind:     by_value
      - .address_space:  global
        .offset:         56
        .size:           8
        .value_kind:     global_buffer
      - .offset:         64
        .size:           8
        .value_kind:     by_value
      - .offset:         72
        .size:           4
        .value_kind:     by_value
      - .offset:         80
        .size:           8
        .value_kind:     by_value
      - .offset:         88
        .size:           8
        .value_kind:     by_value
      - .offset:         96
        .size:           4
        .value_kind:     by_value
    .group_segment_fixed_size: 4096
    .kernarg_segment_align: 8
    .kernarg_segment_size: 100
    .language:       OpenCL C
    .language_version:
      - 2
      - 0
    .max_flat_workgroup_size: 256
    .name:           _ZL29rocblas_trtri_diagonal_kernelILi16EfPKfPfEv13rocblas_fill_17rocblas_diagonal_iT1_lillT2_lilli
    .private_segment_fixed_size: 0
    .sgpr_count:     55
    .sgpr_spill_count: 0
    .symbol:         _ZL29rocblas_trtri_diagonal_kernelILi16EfPKfPfEv13rocblas_fill_17rocblas_diagonal_iT1_lillT2_lilli.kd
    .uniform_work_group_size: 1
    .uses_dynamic_stack: false
    .vgpr_count:     17
    .vgpr_spill_count: 0
    .wavefront_size: 64
  - .agpr_count:     0
    .args:
      - .offset:         0
        .size:           4
        .value_kind:     by_value
      - .offset:         4
        .size:           4
        .value_kind:     by_value
      - .offset:         8
        .size:           4
        .value_kind:     by_value
      - .address_space:  global
        .offset:         16
        .size:           8
        .value_kind:     global_buffer
      - .offset:         24
        .size:           8
        .value_kind:     by_value
      - .offset:         32
        .size:           4
        .value_kind:     by_value
      - .offset:         40
        .size:           8
        .value_kind:     by_value
      - .offset:         48
        .size:           8
        .value_kind:     by_value
      - .address_space:  global
        .offset:         56
        .size:           8
        .value_kind:     global_buffer
      - .offset:         64
        .size:           8
        .value_kind:     by_value
      - .offset:         72
        .size:           4
        .value_kind:     by_value
      - .offset:         80
        .size:           8
        .value_kind:     by_value
      - .offset:         88
        .size:           8
        .value_kind:     by_value
      - .offset:         96
        .size:           4
        .value_kind:     by_value
    .group_segment_fixed_size: 4096
    .kernarg_segment_align: 8
    .kernarg_segment_size: 100
    .language:       OpenCL C
    .language_version:
      - 2
      - 0
    .max_flat_workgroup_size: 1024
    .name:           _ZL30rocblas_trtri_remainder_kernelILi16EfPKfPfEv13rocblas_fill_17rocblas_diagonal_iT1_lillT2_lilli
    .private_segment_fixed_size: 0
    .sgpr_count:     53
    .sgpr_spill_count: 0
    .symbol:         _ZL30rocblas_trtri_remainder_kernelILi16EfPKfPfEv13rocblas_fill_17rocblas_diagonal_iT1_lillT2_lilli.kd
    .uniform_work_group_size: 1
    .uses_dynamic_stack: false
    .vgpr_count:     14
    .vgpr_spill_count: 0
    .wavefront_size: 64
  - .agpr_count:     0
    .args:
      - .address_space:  global
        .offset:         0
        .size:           8
        .value_kind:     global_buffer
      - .offset:         8
        .size:           4
        .value_kind:     by_value
      - .offset:         12
        .size:           4
        .value_kind:     by_value
      - .offset:         16
        .size:           8
        .value_kind:     by_value
      - .offset:         24
        .size:           4
        .value_kind:     by_value
      - .offset:         32
        .size:           8
        .value_kind:     by_value
      - .address_space:  global
        .offset:         40
        .size:           8
        .value_kind:     global_buffer
      - .offset:         48
        .size:           8
        .value_kind:     by_value
      - .offset:         56
        .size:           8
        .value_kind:     by_value
      - .offset:         64
        .size:           4
        .value_kind:     by_value
      - .offset:         68
        .size:           4
        .value_kind:     by_value
      - .offset:         72
        .size:           4
        .value_kind:     hidden_block_count_x
      - .offset:         76
        .size:           4
        .value_kind:     hidden_block_count_y
      - .offset:         80
        .size:           4
        .value_kind:     hidden_block_count_z
      - .offset:         84
        .size:           2
        .value_kind:     hidden_group_size_x
      - .offset:         86
        .size:           2
        .value_kind:     hidden_group_size_y
      - .offset:         88
        .size:           2
        .value_kind:     hidden_group_size_z
      - .offset:         90
        .size:           2
        .value_kind:     hidden_remainder_x
      - .offset:         92
        .size:           2
        .value_kind:     hidden_remainder_y
      - .offset:         94
        .size:           2
        .value_kind:     hidden_remainder_z
      - .offset:         112
        .size:           8
        .value_kind:     hidden_global_offset_x
      - .offset:         120
        .size:           8
        .value_kind:     hidden_global_offset_y
      - .offset:         128
        .size:           8
        .value_kind:     hidden_global_offset_z
      - .offset:         136
        .size:           2
        .value_kind:     hidden_grid_dims
    .group_segment_fixed_size: 0
    .kernarg_segment_align: 8
    .kernarg_segment_size: 328
    .language:       OpenCL C
    .language_version:
      - 2
      - 0
    .max_flat_workgroup_size: 128
    .name:           _ZL18rocblas_trtri_fillILi128EdPdEvP15_rocblas_handle13rocblas_fill_ililT1_llii
    .private_segment_fixed_size: 0
    .sgpr_count:     43
    .sgpr_spill_count: 0
    .symbol:         _ZL18rocblas_trtri_fillILi128EdPdEvP15_rocblas_handle13rocblas_fill_ililT1_llii.kd
    .uniform_work_group_size: 1
    .uses_dynamic_stack: false
    .vgpr_count:     29
    .vgpr_spill_count: 0
    .wavefront_size: 64
  - .agpr_count:     0
    .args:
      - .offset:         0
        .size:           4
        .value_kind:     by_value
      - .offset:         4
        .size:           4
        .value_kind:     by_value
      - .offset:         8
        .size:           4
        .value_kind:     by_value
      - .address_space:  global
        .offset:         16
        .size:           8
        .value_kind:     global_buffer
      - .offset:         24
        .size:           8
        .value_kind:     by_value
      - .offset:         32
        .size:           4
        .value_kind:     by_value
      - .offset:         40
        .size:           8
        .value_kind:     by_value
      - .offset:         48
        .size:           8
        .value_kind:     by_value
      - .address_space:  global
        .offset:         56
        .size:           8
        .value_kind:     global_buffer
      - .offset:         64
        .size:           8
        .value_kind:     by_value
      - .offset:         72
        .size:           4
        .value_kind:     by_value
      - .offset:         80
        .size:           8
        .value_kind:     by_value
      - .offset:         88
        .size:           8
        .value_kind:     by_value
      - .offset:         96
        .size:           4
        .value_kind:     by_value
    .group_segment_fixed_size: 2048
    .kernarg_segment_align: 8
    .kernarg_segment_size: 100
    .language:       OpenCL C
    .language_version:
      - 2
      - 0
    .max_flat_workgroup_size: 16
    .name:           _ZL26rocblas_trtri_small_kernelILi16EdPKdPdEv13rocblas_fill_17rocblas_diagonal_iT1_lillT2_lilli
    .private_segment_fixed_size: 0
    .sgpr_count:     40
    .sgpr_spill_count: 0
    .symbol:         _ZL26rocblas_trtri_small_kernelILi16EdPKdPdEv13rocblas_fill_17rocblas_diagonal_iT1_lillT2_lilli.kd
    .uniform_work_group_size: 1
    .uses_dynamic_stack: false
    .vgpr_count:     14
    .vgpr_spill_count: 0
    .wavefront_size: 64
  - .agpr_count:     0
    .args:
      - .offset:         0
        .size:           4
        .value_kind:     by_value
      - .offset:         4
        .size:           4
        .value_kind:     by_value
      - .offset:         8
        .size:           4
        .value_kind:     by_value
      - .address_space:  global
        .offset:         16
        .size:           8
        .value_kind:     global_buffer
      - .offset:         24
        .size:           8
        .value_kind:     by_value
      - .offset:         32
        .size:           4
        .value_kind:     by_value
      - .offset:         40
        .size:           8
        .value_kind:     by_value
      - .offset:         48
        .size:           8
        .value_kind:     by_value
      - .address_space:  global
        .offset:         56
        .size:           8
        .value_kind:     global_buffer
      - .offset:         64
        .size:           8
        .value_kind:     by_value
      - .offset:         72
        .size:           4
        .value_kind:     by_value
      - .offset:         80
        .size:           8
        .value_kind:     by_value
      - .offset:         88
        .size:           8
        .value_kind:     by_value
      - .offset:         96
        .size:           4
        .value_kind:     by_value
    .group_segment_fixed_size: 8192
    .kernarg_segment_align: 8
    .kernarg_segment_size: 100
    .language:       OpenCL C
    .language_version:
      - 2
      - 0
    .max_flat_workgroup_size: 256
    .name:           _ZL29rocblas_trtri_diagonal_kernelILi16EdPKdPdEv13rocblas_fill_17rocblas_diagonal_iT1_lillT2_lilli
    .private_segment_fixed_size: 0
    .sgpr_count:     49
    .sgpr_spill_count: 0
    .symbol:         _ZL29rocblas_trtri_diagonal_kernelILi16EdPKdPdEv13rocblas_fill_17rocblas_diagonal_iT1_lillT2_lilli.kd
    .uniform_work_group_size: 1
    .uses_dynamic_stack: false
    .vgpr_count:     16
    .vgpr_spill_count: 0
    .wavefront_size: 64
  - .agpr_count:     0
    .args:
      - .offset:         0
        .size:           4
        .value_kind:     by_value
      - .offset:         4
        .size:           4
        .value_kind:     by_value
      - .offset:         8
        .size:           4
        .value_kind:     by_value
      - .address_space:  global
        .offset:         16
        .size:           8
        .value_kind:     global_buffer
      - .offset:         24
        .size:           8
        .value_kind:     by_value
      - .offset:         32
        .size:           4
        .value_kind:     by_value
      - .offset:         40
        .size:           8
        .value_kind:     by_value
      - .offset:         48
        .size:           8
        .value_kind:     by_value
      - .address_space:  global
        .offset:         56
        .size:           8
        .value_kind:     global_buffer
      - .offset:         64
        .size:           8
        .value_kind:     by_value
      - .offset:         72
        .size:           4
        .value_kind:     by_value
      - .offset:         80
        .size:           8
        .value_kind:     by_value
      - .offset:         88
        .size:           8
        .value_kind:     by_value
      - .offset:         96
        .size:           4
        .value_kind:     by_value
    .group_segment_fixed_size: 8192
    .kernarg_segment_align: 8
    .kernarg_segment_size: 100
    .language:       OpenCL C
    .language_version:
      - 2
      - 0
    .max_flat_workgroup_size: 1024
    .name:           _ZL30rocblas_trtri_remainder_kernelILi16EdPKdPdEv13rocblas_fill_17rocblas_diagonal_iT1_lillT2_lilli
    .private_segment_fixed_size: 0
    .sgpr_count:     40
    .sgpr_spill_count: 0
    .symbol:         _ZL30rocblas_trtri_remainder_kernelILi16EdPKdPdEv13rocblas_fill_17rocblas_diagonal_iT1_lillT2_lilli.kd
    .uniform_work_group_size: 1
    .uses_dynamic_stack: false
    .vgpr_count:     14
    .vgpr_spill_count: 0
    .wavefront_size: 64
  - .agpr_count:     0
    .args:
      - .address_space:  global
        .offset:         0
        .size:           8
        .value_kind:     global_buffer
      - .offset:         8
        .size:           4
        .value_kind:     by_value
      - .offset:         12
        .size:           4
        .value_kind:     by_value
      - .offset:         16
        .size:           8
        .value_kind:     by_value
      - .offset:         24
        .size:           4
        .value_kind:     by_value
      - .offset:         32
        .size:           8
        .value_kind:     by_value
      - .address_space:  global
        .offset:         40
        .size:           8
        .value_kind:     global_buffer
      - .offset:         48
        .size:           8
        .value_kind:     by_value
      - .offset:         56
        .size:           8
        .value_kind:     by_value
      - .offset:         64
        .size:           4
        .value_kind:     by_value
      - .offset:         68
        .size:           4
        .value_kind:     by_value
      - .offset:         72
        .size:           4
        .value_kind:     hidden_block_count_x
      - .offset:         76
        .size:           4
        .value_kind:     hidden_block_count_y
      - .offset:         80
        .size:           4
        .value_kind:     hidden_block_count_z
      - .offset:         84
        .size:           2
        .value_kind:     hidden_group_size_x
      - .offset:         86
        .size:           2
        .value_kind:     hidden_group_size_y
      - .offset:         88
        .size:           2
        .value_kind:     hidden_group_size_z
      - .offset:         90
        .size:           2
        .value_kind:     hidden_remainder_x
      - .offset:         92
        .size:           2
        .value_kind:     hidden_remainder_y
      - .offset:         94
        .size:           2
        .value_kind:     hidden_remainder_z
      - .offset:         112
        .size:           8
        .value_kind:     hidden_global_offset_x
      - .offset:         120
        .size:           8
        .value_kind:     hidden_global_offset_y
      - .offset:         128
        .size:           8
        .value_kind:     hidden_global_offset_z
      - .offset:         136
        .size:           2
        .value_kind:     hidden_grid_dims
    .group_segment_fixed_size: 0
    .kernarg_segment_align: 8
    .kernarg_segment_size: 328
    .language:       OpenCL C
    .language_version:
      - 2
      - 0
    .max_flat_workgroup_size: 128
    .name:           _ZL18rocblas_trtri_fillILi128E19rocblas_complex_numIfEPS1_EvP15_rocblas_handle13rocblas_fill_ililT1_llii
    .private_segment_fixed_size: 0
    .sgpr_count:     43
    .sgpr_spill_count: 0
    .symbol:         _ZL18rocblas_trtri_fillILi128E19rocblas_complex_numIfEPS1_EvP15_rocblas_handle13rocblas_fill_ililT1_llii.kd
    .uniform_work_group_size: 1
    .uses_dynamic_stack: false
    .vgpr_count:     27
    .vgpr_spill_count: 0
    .wavefront_size: 64
  - .agpr_count:     0
    .args:
      - .offset:         0
        .size:           4
        .value_kind:     by_value
      - .offset:         4
        .size:           4
        .value_kind:     by_value
      - .offset:         8
        .size:           4
        .value_kind:     by_value
      - .address_space:  global
        .offset:         16
        .size:           8
        .value_kind:     global_buffer
      - .offset:         24
        .size:           8
        .value_kind:     by_value
      - .offset:         32
        .size:           4
        .value_kind:     by_value
      - .offset:         40
        .size:           8
        .value_kind:     by_value
      - .offset:         48
        .size:           8
        .value_kind:     by_value
      - .address_space:  global
        .offset:         56
        .size:           8
        .value_kind:     global_buffer
      - .offset:         64
        .size:           8
        .value_kind:     by_value
      - .offset:         72
        .size:           4
        .value_kind:     by_value
      - .offset:         80
        .size:           8
        .value_kind:     by_value
      - .offset:         88
        .size:           8
        .value_kind:     by_value
      - .offset:         96
        .size:           4
        .value_kind:     by_value
    .group_segment_fixed_size: 2048
    .kernarg_segment_align: 8
    .kernarg_segment_size: 100
    .language:       OpenCL C
    .language_version:
      - 2
      - 0
    .max_flat_workgroup_size: 16
    .name:           _ZL26rocblas_trtri_small_kernelILi16E19rocblas_complex_numIfEPKS1_PS1_Ev13rocblas_fill_17rocblas_diagonal_iT1_lillT2_lilli
    .private_segment_fixed_size: 0
    .sgpr_count:     40
    .sgpr_spill_count: 0
    .symbol:         _ZL26rocblas_trtri_small_kernelILi16E19rocblas_complex_numIfEPKS1_PS1_Ev13rocblas_fill_17rocblas_diagonal_iT1_lillT2_lilli.kd
    .uniform_work_group_size: 1
    .uses_dynamic_stack: false
    .vgpr_count:     16
    .vgpr_spill_count: 0
    .wavefront_size: 64
  - .agpr_count:     0
    .args:
      - .offset:         0
        .size:           4
        .value_kind:     by_value
      - .offset:         4
        .size:           4
        .value_kind:     by_value
      - .offset:         8
        .size:           4
        .value_kind:     by_value
      - .address_space:  global
        .offset:         16
        .size:           8
        .value_kind:     global_buffer
      - .offset:         24
        .size:           8
        .value_kind:     by_value
      - .offset:         32
        .size:           4
        .value_kind:     by_value
      - .offset:         40
        .size:           8
        .value_kind:     by_value
      - .offset:         48
        .size:           8
        .value_kind:     by_value
      - .address_space:  global
        .offset:         56
        .size:           8
        .value_kind:     global_buffer
      - .offset:         64
        .size:           8
        .value_kind:     by_value
      - .offset:         72
        .size:           4
        .value_kind:     by_value
      - .offset:         80
        .size:           8
        .value_kind:     by_value
      - .offset:         88
        .size:           8
        .value_kind:     by_value
      - .offset:         96
        .size:           4
        .value_kind:     by_value
    .group_segment_fixed_size: 8192
    .kernarg_segment_align: 8
    .kernarg_segment_size: 100
    .language:       OpenCL C
    .language_version:
      - 2
      - 0
    .max_flat_workgroup_size: 256
    .name:           _ZL29rocblas_trtri_diagonal_kernelILi16E19rocblas_complex_numIfEPKS1_PS1_Ev13rocblas_fill_17rocblas_diagonal_iT1_lillT2_lilli
    .private_segment_fixed_size: 0
    .sgpr_count:     49
    .sgpr_spill_count: 0
    .symbol:         _ZL29rocblas_trtri_diagonal_kernelILi16E19rocblas_complex_numIfEPKS1_PS1_Ev13rocblas_fill_17rocblas_diagonal_iT1_lillT2_lilli.kd
    .uniform_work_group_size: 1
    .uses_dynamic_stack: false
    .vgpr_count:     20
    .vgpr_spill_count: 0
    .wavefront_size: 64
  - .agpr_count:     0
    .args:
      - .offset:         0
        .size:           4
        .value_kind:     by_value
      - .offset:         4
        .size:           4
        .value_kind:     by_value
      - .offset:         8
        .size:           4
        .value_kind:     by_value
      - .address_space:  global
        .offset:         16
        .size:           8
        .value_kind:     global_buffer
      - .offset:         24
        .size:           8
        .value_kind:     by_value
      - .offset:         32
        .size:           4
        .value_kind:     by_value
      - .offset:         40
        .size:           8
        .value_kind:     by_value
      - .offset:         48
        .size:           8
        .value_kind:     by_value
      - .address_space:  global
        .offset:         56
        .size:           8
        .value_kind:     global_buffer
      - .offset:         64
        .size:           8
        .value_kind:     by_value
      - .offset:         72
        .size:           4
        .value_kind:     by_value
      - .offset:         80
        .size:           8
        .value_kind:     by_value
      - .offset:         88
        .size:           8
        .value_kind:     by_value
      - .offset:         96
        .size:           4
        .value_kind:     by_value
    .group_segment_fixed_size: 8192
    .kernarg_segment_align: 8
    .kernarg_segment_size: 100
    .language:       OpenCL C
    .language_version:
      - 2
      - 0
    .max_flat_workgroup_size: 1024
    .name:           _ZL30rocblas_trtri_remainder_kernelILi16E19rocblas_complex_numIfEPKS1_PS1_Ev13rocblas_fill_17rocblas_diagonal_iT1_lillT2_lilli
    .private_segment_fixed_size: 0
    .sgpr_count:     40
    .sgpr_spill_count: 0
    .symbol:         _ZL30rocblas_trtri_remainder_kernelILi16E19rocblas_complex_numIfEPKS1_PS1_Ev13rocblas_fill_17rocblas_diagonal_iT1_lillT2_lilli.kd
    .uniform_work_group_size: 1
    .uses_dynamic_stack: false
    .vgpr_count:     16
    .vgpr_spill_count: 0
    .wavefront_size: 64
  - .agpr_count:     0
    .args:
      - .address_space:  global
        .offset:         0
        .size:           8
        .value_kind:     global_buffer
      - .offset:         8
        .size:           4
        .value_kind:     by_value
      - .offset:         12
        .size:           4
        .value_kind:     by_value
      - .offset:         16
        .size:           8
        .value_kind:     by_value
      - .offset:         24
        .size:           4
        .value_kind:     by_value
      - .offset:         32
        .size:           8
        .value_kind:     by_value
      - .address_space:  global
        .offset:         40
        .size:           8
        .value_kind:     global_buffer
      - .offset:         48
        .size:           8
        .value_kind:     by_value
      - .offset:         56
        .size:           8
        .value_kind:     by_value
      - .offset:         64
        .size:           4
        .value_kind:     by_value
      - .offset:         68
        .size:           4
        .value_kind:     by_value
      - .offset:         72
        .size:           4
        .value_kind:     hidden_block_count_x
      - .offset:         76
        .size:           4
        .value_kind:     hidden_block_count_y
      - .offset:         80
        .size:           4
        .value_kind:     hidden_block_count_z
      - .offset:         84
        .size:           2
        .value_kind:     hidden_group_size_x
      - .offset:         86
        .size:           2
        .value_kind:     hidden_group_size_y
      - .offset:         88
        .size:           2
        .value_kind:     hidden_group_size_z
      - .offset:         90
        .size:           2
        .value_kind:     hidden_remainder_x
      - .offset:         92
        .size:           2
        .value_kind:     hidden_remainder_y
      - .offset:         94
        .size:           2
        .value_kind:     hidden_remainder_z
      - .offset:         112
        .size:           8
        .value_kind:     hidden_global_offset_x
      - .offset:         120
        .size:           8
        .value_kind:     hidden_global_offset_y
      - .offset:         128
        .size:           8
        .value_kind:     hidden_global_offset_z
      - .offset:         136
        .size:           2
        .value_kind:     hidden_grid_dims
    .group_segment_fixed_size: 0
    .kernarg_segment_align: 8
    .kernarg_segment_size: 328
    .language:       OpenCL C
    .language_version:
      - 2
      - 0
    .max_flat_workgroup_size: 128
    .name:           _ZL18rocblas_trtri_fillILi128E19rocblas_complex_numIdEPS1_EvP15_rocblas_handle13rocblas_fill_ililT1_llii
    .private_segment_fixed_size: 0
    .sgpr_count:     43
    .sgpr_spill_count: 0
    .symbol:         _ZL18rocblas_trtri_fillILi128E19rocblas_complex_numIdEPS1_EvP15_rocblas_handle13rocblas_fill_ililT1_llii.kd
    .uniform_work_group_size: 1
    .uses_dynamic_stack: false
    .vgpr_count:     29
    .vgpr_spill_count: 0
    .wavefront_size: 64
  - .agpr_count:     0
    .args:
      - .offset:         0
        .size:           4
        .value_kind:     by_value
      - .offset:         4
        .size:           4
        .value_kind:     by_value
      - .offset:         8
        .size:           4
        .value_kind:     by_value
      - .address_space:  global
        .offset:         16
        .size:           8
        .value_kind:     global_buffer
      - .offset:         24
        .size:           8
        .value_kind:     by_value
      - .offset:         32
        .size:           4
        .value_kind:     by_value
      - .offset:         40
        .size:           8
        .value_kind:     by_value
      - .offset:         48
        .size:           8
        .value_kind:     by_value
      - .address_space:  global
        .offset:         56
        .size:           8
        .value_kind:     global_buffer
      - .offset:         64
        .size:           8
        .value_kind:     by_value
      - .offset:         72
        .size:           4
        .value_kind:     by_value
      - .offset:         80
        .size:           8
        .value_kind:     by_value
      - .offset:         88
        .size:           8
        .value_kind:     by_value
      - .offset:         96
        .size:           4
        .value_kind:     by_value
    .group_segment_fixed_size: 4096
    .kernarg_segment_align: 8
    .kernarg_segment_size: 100
    .language:       OpenCL C
    .language_version:
      - 2
      - 0
    .max_flat_workgroup_size: 16
    .name:           _ZL26rocblas_trtri_small_kernelILi16E19rocblas_complex_numIdEPKS1_PS1_Ev13rocblas_fill_17rocblas_diagonal_iT1_lillT2_lilli
    .private_segment_fixed_size: 0
    .sgpr_count:     40
    .sgpr_spill_count: 0
    .symbol:         _ZL26rocblas_trtri_small_kernelILi16E19rocblas_complex_numIdEPKS1_PS1_Ev13rocblas_fill_17rocblas_diagonal_iT1_lillT2_lilli.kd
    .uniform_work_group_size: 1
    .uses_dynamic_stack: false
    .vgpr_count:     20
    .vgpr_spill_count: 0
    .wavefront_size: 64
  - .agpr_count:     0
    .args:
      - .offset:         0
        .size:           4
        .value_kind:     by_value
      - .offset:         4
        .size:           4
        .value_kind:     by_value
      - .offset:         8
        .size:           4
        .value_kind:     by_value
      - .address_space:  global
        .offset:         16
        .size:           8
        .value_kind:     global_buffer
      - .offset:         24
        .size:           8
        .value_kind:     by_value
      - .offset:         32
        .size:           4
        .value_kind:     by_value
      - .offset:         40
        .size:           8
        .value_kind:     by_value
      - .offset:         48
        .size:           8
        .value_kind:     by_value
      - .address_space:  global
        .offset:         56
        .size:           8
        .value_kind:     global_buffer
      - .offset:         64
        .size:           8
        .value_kind:     by_value
      - .offset:         72
        .size:           4
        .value_kind:     by_value
      - .offset:         80
        .size:           8
        .value_kind:     by_value
      - .offset:         88
        .size:           8
        .value_kind:     by_value
      - .offset:         96
        .size:           4
        .value_kind:     by_value
    .group_segment_fixed_size: 16384
    .kernarg_segment_align: 8
    .kernarg_segment_size: 100
    .language:       OpenCL C
    .language_version:
      - 2
      - 0
    .max_flat_workgroup_size: 256
    .name:           _ZL29rocblas_trtri_diagonal_kernelILi16E19rocblas_complex_numIdEPKS1_PS1_Ev13rocblas_fill_17rocblas_diagonal_iT1_lillT2_lilli
    .private_segment_fixed_size: 0
    .sgpr_count:     49
    .sgpr_spill_count: 0
    .symbol:         _ZL29rocblas_trtri_diagonal_kernelILi16E19rocblas_complex_numIdEPKS1_PS1_Ev13rocblas_fill_17rocblas_diagonal_iT1_lillT2_lilli.kd
    .uniform_work_group_size: 1
    .uses_dynamic_stack: false
    .vgpr_count:     24
    .vgpr_spill_count: 0
    .wavefront_size: 64
  - .agpr_count:     0
    .args:
      - .offset:         0
        .size:           4
        .value_kind:     by_value
      - .offset:         4
        .size:           4
        .value_kind:     by_value
      - .offset:         8
        .size:           4
        .value_kind:     by_value
      - .address_space:  global
        .offset:         16
        .size:           8
        .value_kind:     global_buffer
      - .offset:         24
        .size:           8
        .value_kind:     by_value
      - .offset:         32
        .size:           4
        .value_kind:     by_value
      - .offset:         40
        .size:           8
        .value_kind:     by_value
      - .offset:         48
        .size:           8
        .value_kind:     by_value
      - .address_space:  global
        .offset:         56
        .size:           8
        .value_kind:     global_buffer
      - .offset:         64
        .size:           8
        .value_kind:     by_value
      - .offset:         72
        .size:           4
        .value_kind:     by_value
      - .offset:         80
        .size:           8
        .value_kind:     by_value
      - .offset:         88
        .size:           8
        .value_kind:     by_value
      - .offset:         96
        .size:           4
        .value_kind:     by_value
    .group_segment_fixed_size: 16384
    .kernarg_segment_align: 8
    .kernarg_segment_size: 100
    .language:       OpenCL C
    .language_version:
      - 2
      - 0
    .max_flat_workgroup_size: 1024
    .name:           _ZL30rocblas_trtri_remainder_kernelILi16E19rocblas_complex_numIdEPKS1_PS1_Ev13rocblas_fill_17rocblas_diagonal_iT1_lillT2_lilli
    .private_segment_fixed_size: 0
    .sgpr_count:     40
    .sgpr_spill_count: 0
    .symbol:         _ZL30rocblas_trtri_remainder_kernelILi16E19rocblas_complex_numIdEPKS1_PS1_Ev13rocblas_fill_17rocblas_diagonal_iT1_lillT2_lilli.kd
    .uniform_work_group_size: 1
    .uses_dynamic_stack: false
    .vgpr_count:     20
    .vgpr_spill_count: 0
    .wavefront_size: 64
  - .agpr_count:     0
    .args:
      - .address_space:  global
        .offset:         0
        .size:           8
        .value_kind:     global_buffer
      - .offset:         8
        .size:           4
        .value_kind:     by_value
      - .offset:         12
        .size:           4
        .value_kind:     by_value
      - .offset:         16
        .size:           8
        .value_kind:     by_value
      - .offset:         24
        .size:           4
        .value_kind:     by_value
      - .offset:         32
        .size:           8
        .value_kind:     by_value
      - .address_space:  global
        .offset:         40
        .size:           8
        .value_kind:     global_buffer
      - .offset:         48
        .size:           8
        .value_kind:     by_value
      - .offset:         56
        .size:           8
        .value_kind:     by_value
      - .offset:         64
        .size:           4
        .value_kind:     by_value
      - .offset:         68
        .size:           4
        .value_kind:     by_value
      - .offset:         72
        .size:           4
        .value_kind:     hidden_block_count_x
      - .offset:         76
        .size:           4
        .value_kind:     hidden_block_count_y
      - .offset:         80
        .size:           4
        .value_kind:     hidden_block_count_z
      - .offset:         84
        .size:           2
        .value_kind:     hidden_group_size_x
      - .offset:         86
        .size:           2
        .value_kind:     hidden_group_size_y
      - .offset:         88
        .size:           2
        .value_kind:     hidden_group_size_z
      - .offset:         90
        .size:           2
        .value_kind:     hidden_remainder_x
      - .offset:         92
        .size:           2
        .value_kind:     hidden_remainder_y
      - .offset:         94
        .size:           2
        .value_kind:     hidden_remainder_z
      - .offset:         112
        .size:           8
        .value_kind:     hidden_global_offset_x
      - .offset:         120
        .size:           8
        .value_kind:     hidden_global_offset_y
      - .offset:         128
        .size:           8
        .value_kind:     hidden_global_offset_z
      - .offset:         136
        .size:           2
        .value_kind:     hidden_grid_dims
    .group_segment_fixed_size: 0
    .kernarg_segment_align: 8
    .kernarg_segment_size: 328
    .language:       OpenCL C
    .language_version:
      - 2
      - 0
    .max_flat_workgroup_size: 128
    .name:           _ZL18rocblas_trtri_fillILi128EfPKPfEvP15_rocblas_handle13rocblas_fill_ililT1_llii
    .private_segment_fixed_size: 0
    .sgpr_count:     43
    .sgpr_spill_count: 0
    .symbol:         _ZL18rocblas_trtri_fillILi128EfPKPfEvP15_rocblas_handle13rocblas_fill_ililT1_llii.kd
    .uniform_work_group_size: 1
    .uses_dynamic_stack: false
    .vgpr_count:     27
    .vgpr_spill_count: 0
    .wavefront_size: 64
  - .agpr_count:     0
    .args:
      - .offset:         0
        .size:           4
        .value_kind:     by_value
      - .offset:         4
        .size:           4
        .value_kind:     by_value
      - .offset:         8
        .size:           4
        .value_kind:     by_value
      - .address_space:  global
        .offset:         16
        .size:           8
        .value_kind:     global_buffer
      - .offset:         24
        .size:           8
        .value_kind:     by_value
      - .offset:         32
        .size:           4
        .value_kind:     by_value
      - .offset:         40
        .size:           8
        .value_kind:     by_value
      - .offset:         48
        .size:           8
        .value_kind:     by_value
      - .address_space:  global
        .offset:         56
        .size:           8
        .value_kind:     global_buffer
      - .offset:         64
        .size:           8
        .value_kind:     by_value
      - .offset:         72
        .size:           4
        .value_kind:     by_value
      - .offset:         80
        .size:           8
        .value_kind:     by_value
      - .offset:         88
        .size:           8
        .value_kind:     by_value
      - .offset:         96
        .size:           4
        .value_kind:     by_value
    .group_segment_fixed_size: 1024
    .kernarg_segment_align: 8
    .kernarg_segment_size: 100
    .language:       OpenCL C
    .language_version:
      - 2
      - 0
    .max_flat_workgroup_size: 16
    .name:           _ZL26rocblas_trtri_small_kernelILi16EfPKPKfPKPfEv13rocblas_fill_17rocblas_diagonal_iT1_lillT2_lilli
    .private_segment_fixed_size: 0
    .sgpr_count:     36
    .sgpr_spill_count: 0
    .symbol:         _ZL26rocblas_trtri_small_kernelILi16EfPKPKfPKPfEv13rocblas_fill_17rocblas_diagonal_iT1_lillT2_lilli.kd
    .uniform_work_group_size: 1
    .uses_dynamic_stack: false
    .vgpr_count:     9
    .vgpr_spill_count: 0
    .wavefront_size: 64
  - .agpr_count:     0
    .args:
      - .offset:         0
        .size:           4
        .value_kind:     by_value
      - .offset:         4
        .size:           4
        .value_kind:     by_value
      - .offset:         8
        .size:           4
        .value_kind:     by_value
      - .address_space:  global
        .offset:         16
        .size:           8
        .value_kind:     global_buffer
      - .offset:         24
        .size:           8
        .value_kind:     by_value
      - .offset:         32
        .size:           4
        .value_kind:     by_value
      - .offset:         40
        .size:           8
        .value_kind:     by_value
      - .offset:         48
        .size:           8
        .value_kind:     by_value
      - .address_space:  global
        .offset:         56
        .size:           8
        .value_kind:     global_buffer
      - .offset:         64
        .size:           8
        .value_kind:     by_value
      - .offset:         72
        .size:           4
        .value_kind:     by_value
      - .offset:         80
        .size:           8
        .value_kind:     by_value
      - .offset:         88
        .size:           8
        .value_kind:     by_value
      - .offset:         96
        .size:           4
        .value_kind:     by_value
    .group_segment_fixed_size: 4096
    .kernarg_segment_align: 8
    .kernarg_segment_size: 100
    .language:       OpenCL C
    .language_version:
      - 2
      - 0
    .max_flat_workgroup_size: 256
    .name:           _ZL29rocblas_trtri_diagonal_kernelILi16EfPKPKfPKPfEv13rocblas_fill_17rocblas_diagonal_iT1_lillT2_lilli
    .private_segment_fixed_size: 0
    .sgpr_count:     46
    .sgpr_spill_count: 0
    .symbol:         _ZL29rocblas_trtri_diagonal_kernelILi16EfPKPKfPKPfEv13rocblas_fill_17rocblas_diagonal_iT1_lillT2_lilli.kd
    .uniform_work_group_size: 1
    .uses_dynamic_stack: false
    .vgpr_count:     13
    .vgpr_spill_count: 0
    .wavefront_size: 64
  - .agpr_count:     0
    .args:
      - .offset:         0
        .size:           4
        .value_kind:     by_value
      - .offset:         4
        .size:           4
        .value_kind:     by_value
      - .offset:         8
        .size:           4
        .value_kind:     by_value
      - .address_space:  global
        .offset:         16
        .size:           8
        .value_kind:     global_buffer
      - .offset:         24
        .size:           8
        .value_kind:     by_value
      - .offset:         32
        .size:           4
        .value_kind:     by_value
      - .offset:         40
        .size:           8
        .value_kind:     by_value
      - .offset:         48
        .size:           8
        .value_kind:     by_value
      - .address_space:  global
        .offset:         56
        .size:           8
        .value_kind:     global_buffer
      - .offset:         64
        .size:           8
        .value_kind:     by_value
      - .offset:         72
        .size:           4
        .value_kind:     by_value
      - .offset:         80
        .size:           8
        .value_kind:     by_value
      - .offset:         88
        .size:           8
        .value_kind:     by_value
      - .offset:         96
        .size:           4
        .value_kind:     by_value
    .group_segment_fixed_size: 4096
    .kernarg_segment_align: 8
    .kernarg_segment_size: 100
    .language:       OpenCL C
    .language_version:
      - 2
      - 0
    .max_flat_workgroup_size: 1024
    .name:           _ZL30rocblas_trtri_remainder_kernelILi16EfPKPKfPKPfEv13rocblas_fill_17rocblas_diagonal_iT1_lillT2_lilli
    .private_segment_fixed_size: 0
    .sgpr_count:     36
    .sgpr_spill_count: 0
    .symbol:         _ZL30rocblas_trtri_remainder_kernelILi16EfPKPKfPKPfEv13rocblas_fill_17rocblas_diagonal_iT1_lillT2_lilli.kd
    .uniform_work_group_size: 1
    .uses_dynamic_stack: false
    .vgpr_count:     9
    .vgpr_spill_count: 0
    .wavefront_size: 64
  - .agpr_count:     0
    .args:
      - .address_space:  global
        .offset:         0
        .size:           8
        .value_kind:     global_buffer
      - .offset:         8
        .size:           4
        .value_kind:     by_value
      - .offset:         12
        .size:           4
        .value_kind:     by_value
      - .offset:         16
        .size:           8
        .value_kind:     by_value
      - .offset:         24
        .size:           4
        .value_kind:     by_value
      - .offset:         32
        .size:           8
        .value_kind:     by_value
      - .address_space:  global
        .offset:         40
        .size:           8
        .value_kind:     global_buffer
      - .offset:         48
        .size:           8
        .value_kind:     by_value
      - .offset:         56
        .size:           8
        .value_kind:     by_value
      - .offset:         64
        .size:           4
        .value_kind:     by_value
      - .offset:         68
        .size:           4
        .value_kind:     by_value
      - .offset:         72
        .size:           4
        .value_kind:     hidden_block_count_x
      - .offset:         76
        .size:           4
        .value_kind:     hidden_block_count_y
      - .offset:         80
        .size:           4
        .value_kind:     hidden_block_count_z
      - .offset:         84
        .size:           2
        .value_kind:     hidden_group_size_x
      - .offset:         86
        .size:           2
        .value_kind:     hidden_group_size_y
      - .offset:         88
        .size:           2
        .value_kind:     hidden_group_size_z
      - .offset:         90
        .size:           2
        .value_kind:     hidden_remainder_x
      - .offset:         92
        .size:           2
        .value_kind:     hidden_remainder_y
      - .offset:         94
        .size:           2
        .value_kind:     hidden_remainder_z
      - .offset:         112
        .size:           8
        .value_kind:     hidden_global_offset_x
      - .offset:         120
        .size:           8
        .value_kind:     hidden_global_offset_y
      - .offset:         128
        .size:           8
        .value_kind:     hidden_global_offset_z
      - .offset:         136
        .size:           2
        .value_kind:     hidden_grid_dims
    .group_segment_fixed_size: 0
    .kernarg_segment_align: 8
    .kernarg_segment_size: 328
    .language:       OpenCL C
    .language_version:
      - 2
      - 0
    .max_flat_workgroup_size: 128
    .name:           _ZL18rocblas_trtri_fillILi128EdPKPdEvP15_rocblas_handle13rocblas_fill_ililT1_llii
    .private_segment_fixed_size: 0
    .sgpr_count:     43
    .sgpr_spill_count: 0
    .symbol:         _ZL18rocblas_trtri_fillILi128EdPKPdEvP15_rocblas_handle13rocblas_fill_ililT1_llii.kd
    .uniform_work_group_size: 1
    .uses_dynamic_stack: false
    .vgpr_count:     29
    .vgpr_spill_count: 0
    .wavefront_size: 64
  - .agpr_count:     0
    .args:
      - .offset:         0
        .size:           4
        .value_kind:     by_value
      - .offset:         4
        .size:           4
        .value_kind:     by_value
      - .offset:         8
        .size:           4
        .value_kind:     by_value
      - .address_space:  global
        .offset:         16
        .size:           8
        .value_kind:     global_buffer
      - .offset:         24
        .size:           8
        .value_kind:     by_value
      - .offset:         32
        .size:           4
        .value_kind:     by_value
      - .offset:         40
        .size:           8
        .value_kind:     by_value
      - .offset:         48
        .size:           8
        .value_kind:     by_value
      - .address_space:  global
        .offset:         56
        .size:           8
        .value_kind:     global_buffer
      - .offset:         64
        .size:           8
        .value_kind:     by_value
      - .offset:         72
        .size:           4
        .value_kind:     by_value
      - .offset:         80
        .size:           8
        .value_kind:     by_value
      - .offset:         88
        .size:           8
        .value_kind:     by_value
      - .offset:         96
        .size:           4
        .value_kind:     by_value
    .group_segment_fixed_size: 2048
    .kernarg_segment_align: 8
    .kernarg_segment_size: 100
    .language:       OpenCL C
    .language_version:
      - 2
      - 0
    .max_flat_workgroup_size: 16
    .name:           _ZL26rocblas_trtri_small_kernelILi16EdPKPKdPKPdEv13rocblas_fill_17rocblas_diagonal_iT1_lillT2_lilli
    .private_segment_fixed_size: 0
    .sgpr_count:     36
    .sgpr_spill_count: 0
    .symbol:         _ZL26rocblas_trtri_small_kernelILi16EdPKPKdPKPdEv13rocblas_fill_17rocblas_diagonal_iT1_lillT2_lilli.kd
    .uniform_work_group_size: 1
    .uses_dynamic_stack: false
    .vgpr_count:     14
    .vgpr_spill_count: 0
    .wavefront_size: 64
  - .agpr_count:     0
    .args:
      - .offset:         0
        .size:           4
        .value_kind:     by_value
      - .offset:         4
        .size:           4
        .value_kind:     by_value
      - .offset:         8
        .size:           4
        .value_kind:     by_value
      - .address_space:  global
        .offset:         16
        .size:           8
        .value_kind:     global_buffer
      - .offset:         24
        .size:           8
        .value_kind:     by_value
      - .offset:         32
        .size:           4
        .value_kind:     by_value
      - .offset:         40
        .size:           8
        .value_kind:     by_value
      - .offset:         48
        .size:           8
        .value_kind:     by_value
      - .address_space:  global
        .offset:         56
        .size:           8
        .value_kind:     global_buffer
      - .offset:         64
        .size:           8
        .value_kind:     by_value
      - .offset:         72
        .size:           4
        .value_kind:     by_value
      - .offset:         80
        .size:           8
        .value_kind:     by_value
      - .offset:         88
        .size:           8
        .value_kind:     by_value
      - .offset:         96
        .size:           4
        .value_kind:     by_value
    .group_segment_fixed_size: 8192
    .kernarg_segment_align: 8
    .kernarg_segment_size: 100
    .language:       OpenCL C
    .language_version:
      - 2
      - 0
    .max_flat_workgroup_size: 256
    .name:           _ZL29rocblas_trtri_diagonal_kernelILi16EdPKPKdPKPdEv13rocblas_fill_17rocblas_diagonal_iT1_lillT2_lilli
    .private_segment_fixed_size: 0
    .sgpr_count:     46
    .sgpr_spill_count: 0
    .symbol:         _ZL29rocblas_trtri_diagonal_kernelILi16EdPKPKdPKPdEv13rocblas_fill_17rocblas_diagonal_iT1_lillT2_lilli.kd
    .uniform_work_group_size: 1
    .uses_dynamic_stack: false
    .vgpr_count:     16
    .vgpr_spill_count: 0
    .wavefront_size: 64
  - .agpr_count:     0
    .args:
      - .offset:         0
        .size:           4
        .value_kind:     by_value
      - .offset:         4
        .size:           4
        .value_kind:     by_value
      - .offset:         8
        .size:           4
        .value_kind:     by_value
      - .address_space:  global
        .offset:         16
        .size:           8
        .value_kind:     global_buffer
      - .offset:         24
        .size:           8
        .value_kind:     by_value
      - .offset:         32
        .size:           4
        .value_kind:     by_value
      - .offset:         40
        .size:           8
        .value_kind:     by_value
      - .offset:         48
        .size:           8
        .value_kind:     by_value
      - .address_space:  global
        .offset:         56
        .size:           8
        .value_kind:     global_buffer
      - .offset:         64
        .size:           8
        .value_kind:     by_value
      - .offset:         72
        .size:           4
        .value_kind:     by_value
      - .offset:         80
        .size:           8
        .value_kind:     by_value
      - .offset:         88
        .size:           8
        .value_kind:     by_value
      - .offset:         96
        .size:           4
        .value_kind:     by_value
    .group_segment_fixed_size: 8192
    .kernarg_segment_align: 8
    .kernarg_segment_size: 100
    .language:       OpenCL C
    .language_version:
      - 2
      - 0
    .max_flat_workgroup_size: 1024
    .name:           _ZL30rocblas_trtri_remainder_kernelILi16EdPKPKdPKPdEv13rocblas_fill_17rocblas_diagonal_iT1_lillT2_lilli
    .private_segment_fixed_size: 0
    .sgpr_count:     36
    .sgpr_spill_count: 0
    .symbol:         _ZL30rocblas_trtri_remainder_kernelILi16EdPKPKdPKPdEv13rocblas_fill_17rocblas_diagonal_iT1_lillT2_lilli.kd
    .uniform_work_group_size: 1
    .uses_dynamic_stack: false
    .vgpr_count:     14
    .vgpr_spill_count: 0
    .wavefront_size: 64
  - .agpr_count:     0
    .args:
      - .address_space:  global
        .offset:         0
        .size:           8
        .value_kind:     global_buffer
      - .offset:         8
        .size:           4
        .value_kind:     by_value
      - .offset:         12
        .size:           4
        .value_kind:     by_value
      - .offset:         16
        .size:           8
        .value_kind:     by_value
      - .offset:         24
        .size:           4
        .value_kind:     by_value
      - .offset:         32
        .size:           8
        .value_kind:     by_value
      - .address_space:  global
        .offset:         40
        .size:           8
        .value_kind:     global_buffer
      - .offset:         48
        .size:           8
        .value_kind:     by_value
      - .offset:         56
        .size:           8
        .value_kind:     by_value
      - .offset:         64
        .size:           4
        .value_kind:     by_value
      - .offset:         68
        .size:           4
        .value_kind:     by_value
      - .offset:         72
        .size:           4
        .value_kind:     hidden_block_count_x
      - .offset:         76
        .size:           4
        .value_kind:     hidden_block_count_y
      - .offset:         80
        .size:           4
        .value_kind:     hidden_block_count_z
      - .offset:         84
        .size:           2
        .value_kind:     hidden_group_size_x
      - .offset:         86
        .size:           2
        .value_kind:     hidden_group_size_y
      - .offset:         88
        .size:           2
        .value_kind:     hidden_group_size_z
      - .offset:         90
        .size:           2
        .value_kind:     hidden_remainder_x
      - .offset:         92
        .size:           2
        .value_kind:     hidden_remainder_y
      - .offset:         94
        .size:           2
        .value_kind:     hidden_remainder_z
      - .offset:         112
        .size:           8
        .value_kind:     hidden_global_offset_x
      - .offset:         120
        .size:           8
        .value_kind:     hidden_global_offset_y
      - .offset:         128
        .size:           8
        .value_kind:     hidden_global_offset_z
      - .offset:         136
        .size:           2
        .value_kind:     hidden_grid_dims
    .group_segment_fixed_size: 0
    .kernarg_segment_align: 8
    .kernarg_segment_size: 328
    .language:       OpenCL C
    .language_version:
      - 2
      - 0
    .max_flat_workgroup_size: 128
    .name:           _ZL18rocblas_trtri_fillILi128E19rocblas_complex_numIfEPKPS1_EvP15_rocblas_handle13rocblas_fill_ililT1_llii
    .private_segment_fixed_size: 0
    .sgpr_count:     43
    .sgpr_spill_count: 0
    .symbol:         _ZL18rocblas_trtri_fillILi128E19rocblas_complex_numIfEPKPS1_EvP15_rocblas_handle13rocblas_fill_ililT1_llii.kd
    .uniform_work_group_size: 1
    .uses_dynamic_stack: false
    .vgpr_count:     27
    .vgpr_spill_count: 0
    .wavefront_size: 64
  - .agpr_count:     0
    .args:
      - .offset:         0
        .size:           4
        .value_kind:     by_value
      - .offset:         4
        .size:           4
        .value_kind:     by_value
      - .offset:         8
        .size:           4
        .value_kind:     by_value
      - .address_space:  global
        .offset:         16
        .size:           8
        .value_kind:     global_buffer
      - .offset:         24
        .size:           8
        .value_kind:     by_value
      - .offset:         32
        .size:           4
        .value_kind:     by_value
      - .offset:         40
        .size:           8
        .value_kind:     by_value
      - .offset:         48
        .size:           8
        .value_kind:     by_value
      - .address_space:  global
        .offset:         56
        .size:           8
        .value_kind:     global_buffer
      - .offset:         64
        .size:           8
        .value_kind:     by_value
      - .offset:         72
        .size:           4
        .value_kind:     by_value
      - .offset:         80
        .size:           8
        .value_kind:     by_value
      - .offset:         88
        .size:           8
        .value_kind:     by_value
      - .offset:         96
        .size:           4
        .value_kind:     by_value
    .group_segment_fixed_size: 2048
    .kernarg_segment_align: 8
    .kernarg_segment_size: 100
    .language:       OpenCL C
    .language_version:
      - 2
      - 0
    .max_flat_workgroup_size: 16
    .name:           _ZL26rocblas_trtri_small_kernelILi16E19rocblas_complex_numIfEPKPKS1_PKPS1_Ev13rocblas_fill_17rocblas_diagonal_iT1_lillT2_lilli
    .private_segment_fixed_size: 0
    .sgpr_count:     36
    .sgpr_spill_count: 0
    .symbol:         _ZL26rocblas_trtri_small_kernelILi16E19rocblas_complex_numIfEPKPKS1_PKPS1_Ev13rocblas_fill_17rocblas_diagonal_iT1_lillT2_lilli.kd
    .uniform_work_group_size: 1
    .uses_dynamic_stack: false
    .vgpr_count:     16
    .vgpr_spill_count: 0
    .wavefront_size: 64
  - .agpr_count:     0
    .args:
      - .offset:         0
        .size:           4
        .value_kind:     by_value
      - .offset:         4
        .size:           4
        .value_kind:     by_value
      - .offset:         8
        .size:           4
        .value_kind:     by_value
      - .address_space:  global
        .offset:         16
        .size:           8
        .value_kind:     global_buffer
      - .offset:         24
        .size:           8
        .value_kind:     by_value
      - .offset:         32
        .size:           4
        .value_kind:     by_value
      - .offset:         40
        .size:           8
        .value_kind:     by_value
      - .offset:         48
        .size:           8
        .value_kind:     by_value
      - .address_space:  global
        .offset:         56
        .size:           8
        .value_kind:     global_buffer
      - .offset:         64
        .size:           8
        .value_kind:     by_value
      - .offset:         72
        .size:           4
        .value_kind:     by_value
      - .offset:         80
        .size:           8
        .value_kind:     by_value
      - .offset:         88
        .size:           8
        .value_kind:     by_value
      - .offset:         96
        .size:           4
        .value_kind:     by_value
    .group_segment_fixed_size: 8192
    .kernarg_segment_align: 8
    .kernarg_segment_size: 100
    .language:       OpenCL C
    .language_version:
      - 2
      - 0
    .max_flat_workgroup_size: 256
    .name:           _ZL29rocblas_trtri_diagonal_kernelILi16E19rocblas_complex_numIfEPKPKS1_PKPS1_Ev13rocblas_fill_17rocblas_diagonal_iT1_lillT2_lilli
    .private_segment_fixed_size: 0
    .sgpr_count:     46
    .sgpr_spill_count: 0
    .symbol:         _ZL29rocblas_trtri_diagonal_kernelILi16E19rocblas_complex_numIfEPKPKS1_PKPS1_Ev13rocblas_fill_17rocblas_diagonal_iT1_lillT2_lilli.kd
    .uniform_work_group_size: 1
    .uses_dynamic_stack: false
    .vgpr_count:     20
    .vgpr_spill_count: 0
    .wavefront_size: 64
  - .agpr_count:     0
    .args:
      - .offset:         0
        .size:           4
        .value_kind:     by_value
      - .offset:         4
        .size:           4
        .value_kind:     by_value
      - .offset:         8
        .size:           4
        .value_kind:     by_value
      - .address_space:  global
        .offset:         16
        .size:           8
        .value_kind:     global_buffer
      - .offset:         24
        .size:           8
        .value_kind:     by_value
      - .offset:         32
        .size:           4
        .value_kind:     by_value
      - .offset:         40
        .size:           8
        .value_kind:     by_value
      - .offset:         48
        .size:           8
        .value_kind:     by_value
      - .address_space:  global
        .offset:         56
        .size:           8
        .value_kind:     global_buffer
      - .offset:         64
        .size:           8
        .value_kind:     by_value
      - .offset:         72
        .size:           4
        .value_kind:     by_value
      - .offset:         80
        .size:           8
        .value_kind:     by_value
      - .offset:         88
        .size:           8
        .value_kind:     by_value
      - .offset:         96
        .size:           4
        .value_kind:     by_value
    .group_segment_fixed_size: 8192
    .kernarg_segment_align: 8
    .kernarg_segment_size: 100
    .language:       OpenCL C
    .language_version:
      - 2
      - 0
    .max_flat_workgroup_size: 1024
    .name:           _ZL30rocblas_trtri_remainder_kernelILi16E19rocblas_complex_numIfEPKPKS1_PKPS1_Ev13rocblas_fill_17rocblas_diagonal_iT1_lillT2_lilli
    .private_segment_fixed_size: 0
    .sgpr_count:     36
    .sgpr_spill_count: 0
    .symbol:         _ZL30rocblas_trtri_remainder_kernelILi16E19rocblas_complex_numIfEPKPKS1_PKPS1_Ev13rocblas_fill_17rocblas_diagonal_iT1_lillT2_lilli.kd
    .uniform_work_group_size: 1
    .uses_dynamic_stack: false
    .vgpr_count:     16
    .vgpr_spill_count: 0
    .wavefront_size: 64
  - .agpr_count:     0
    .args:
      - .address_space:  global
        .offset:         0
        .size:           8
        .value_kind:     global_buffer
      - .offset:         8
        .size:           4
        .value_kind:     by_value
      - .offset:         12
        .size:           4
        .value_kind:     by_value
      - .offset:         16
        .size:           8
        .value_kind:     by_value
      - .offset:         24
        .size:           4
        .value_kind:     by_value
      - .offset:         32
        .size:           8
        .value_kind:     by_value
      - .address_space:  global
        .offset:         40
        .size:           8
        .value_kind:     global_buffer
      - .offset:         48
        .size:           8
        .value_kind:     by_value
      - .offset:         56
        .size:           8
        .value_kind:     by_value
      - .offset:         64
        .size:           4
        .value_kind:     by_value
      - .offset:         68
        .size:           4
        .value_kind:     by_value
      - .offset:         72
        .size:           4
        .value_kind:     hidden_block_count_x
      - .offset:         76
        .size:           4
        .value_kind:     hidden_block_count_y
      - .offset:         80
        .size:           4
        .value_kind:     hidden_block_count_z
      - .offset:         84
        .size:           2
        .value_kind:     hidden_group_size_x
      - .offset:         86
        .size:           2
        .value_kind:     hidden_group_size_y
      - .offset:         88
        .size:           2
        .value_kind:     hidden_group_size_z
      - .offset:         90
        .size:           2
        .value_kind:     hidden_remainder_x
      - .offset:         92
        .size:           2
        .value_kind:     hidden_remainder_y
      - .offset:         94
        .size:           2
        .value_kind:     hidden_remainder_z
      - .offset:         112
        .size:           8
        .value_kind:     hidden_global_offset_x
      - .offset:         120
        .size:           8
        .value_kind:     hidden_global_offset_y
      - .offset:         128
        .size:           8
        .value_kind:     hidden_global_offset_z
      - .offset:         136
        .size:           2
        .value_kind:     hidden_grid_dims
    .group_segment_fixed_size: 0
    .kernarg_segment_align: 8
    .kernarg_segment_size: 328
    .language:       OpenCL C
    .language_version:
      - 2
      - 0
    .max_flat_workgroup_size: 128
    .name:           _ZL18rocblas_trtri_fillILi128E19rocblas_complex_numIdEPKPS1_EvP15_rocblas_handle13rocblas_fill_ililT1_llii
    .private_segment_fixed_size: 0
    .sgpr_count:     43
    .sgpr_spill_count: 0
    .symbol:         _ZL18rocblas_trtri_fillILi128E19rocblas_complex_numIdEPKPS1_EvP15_rocblas_handle13rocblas_fill_ililT1_llii.kd
    .uniform_work_group_size: 1
    .uses_dynamic_stack: false
    .vgpr_count:     29
    .vgpr_spill_count: 0
    .wavefront_size: 64
  - .agpr_count:     0
    .args:
      - .offset:         0
        .size:           4
        .value_kind:     by_value
      - .offset:         4
        .size:           4
        .value_kind:     by_value
      - .offset:         8
        .size:           4
        .value_kind:     by_value
      - .address_space:  global
        .offset:         16
        .size:           8
        .value_kind:     global_buffer
      - .offset:         24
        .size:           8
        .value_kind:     by_value
      - .offset:         32
        .size:           4
        .value_kind:     by_value
      - .offset:         40
        .size:           8
        .value_kind:     by_value
      - .offset:         48
        .size:           8
        .value_kind:     by_value
      - .address_space:  global
        .offset:         56
        .size:           8
        .value_kind:     global_buffer
      - .offset:         64
        .size:           8
        .value_kind:     by_value
      - .offset:         72
        .size:           4
        .value_kind:     by_value
      - .offset:         80
        .size:           8
        .value_kind:     by_value
      - .offset:         88
        .size:           8
        .value_kind:     by_value
      - .offset:         96
        .size:           4
        .value_kind:     by_value
    .group_segment_fixed_size: 4096
    .kernarg_segment_align: 8
    .kernarg_segment_size: 100
    .language:       OpenCL C
    .language_version:
      - 2
      - 0
    .max_flat_workgroup_size: 16
    .name:           _ZL26rocblas_trtri_small_kernelILi16E19rocblas_complex_numIdEPKPKS1_PKPS1_Ev13rocblas_fill_17rocblas_diagonal_iT1_lillT2_lilli
    .private_segment_fixed_size: 0
    .sgpr_count:     36
    .sgpr_spill_count: 0
    .symbol:         _ZL26rocblas_trtri_small_kernelILi16E19rocblas_complex_numIdEPKPKS1_PKPS1_Ev13rocblas_fill_17rocblas_diagonal_iT1_lillT2_lilli.kd
    .uniform_work_group_size: 1
    .uses_dynamic_stack: false
    .vgpr_count:     20
    .vgpr_spill_count: 0
    .wavefront_size: 64
  - .agpr_count:     0
    .args:
      - .offset:         0
        .size:           4
        .value_kind:     by_value
      - .offset:         4
        .size:           4
        .value_kind:     by_value
      - .offset:         8
        .size:           4
        .value_kind:     by_value
      - .address_space:  global
        .offset:         16
        .size:           8
        .value_kind:     global_buffer
      - .offset:         24
        .size:           8
        .value_kind:     by_value
      - .offset:         32
        .size:           4
        .value_kind:     by_value
      - .offset:         40
        .size:           8
        .value_kind:     by_value
      - .offset:         48
        .size:           8
        .value_kind:     by_value
      - .address_space:  global
        .offset:         56
        .size:           8
        .value_kind:     global_buffer
      - .offset:         64
        .size:           8
        .value_kind:     by_value
      - .offset:         72
        .size:           4
        .value_kind:     by_value
      - .offset:         80
        .size:           8
        .value_kind:     by_value
      - .offset:         88
        .size:           8
        .value_kind:     by_value
      - .offset:         96
        .size:           4
        .value_kind:     by_value
    .group_segment_fixed_size: 16384
    .kernarg_segment_align: 8
    .kernarg_segment_size: 100
    .language:       OpenCL C
    .language_version:
      - 2
      - 0
    .max_flat_workgroup_size: 256
    .name:           _ZL29rocblas_trtri_diagonal_kernelILi16E19rocblas_complex_numIdEPKPKS1_PKPS1_Ev13rocblas_fill_17rocblas_diagonal_iT1_lillT2_lilli
    .private_segment_fixed_size: 0
    .sgpr_count:     46
    .sgpr_spill_count: 0
    .symbol:         _ZL29rocblas_trtri_diagonal_kernelILi16E19rocblas_complex_numIdEPKPKS1_PKPS1_Ev13rocblas_fill_17rocblas_diagonal_iT1_lillT2_lilli.kd
    .uniform_work_group_size: 1
    .uses_dynamic_stack: false
    .vgpr_count:     24
    .vgpr_spill_count: 0
    .wavefront_size: 64
  - .agpr_count:     0
    .args:
      - .offset:         0
        .size:           4
        .value_kind:     by_value
      - .offset:         4
        .size:           4
        .value_kind:     by_value
      - .offset:         8
        .size:           4
        .value_kind:     by_value
      - .address_space:  global
        .offset:         16
        .size:           8
        .value_kind:     global_buffer
      - .offset:         24
        .size:           8
        .value_kind:     by_value
      - .offset:         32
        .size:           4
        .value_kind:     by_value
      - .offset:         40
        .size:           8
        .value_kind:     by_value
      - .offset:         48
        .size:           8
        .value_kind:     by_value
      - .address_space:  global
        .offset:         56
        .size:           8
        .value_kind:     global_buffer
      - .offset:         64
        .size:           8
        .value_kind:     by_value
      - .offset:         72
        .size:           4
        .value_kind:     by_value
      - .offset:         80
        .size:           8
        .value_kind:     by_value
      - .offset:         88
        .size:           8
        .value_kind:     by_value
      - .offset:         96
        .size:           4
        .value_kind:     by_value
    .group_segment_fixed_size: 16384
    .kernarg_segment_align: 8
    .kernarg_segment_size: 100
    .language:       OpenCL C
    .language_version:
      - 2
      - 0
    .max_flat_workgroup_size: 1024
    .name:           _ZL30rocblas_trtri_remainder_kernelILi16E19rocblas_complex_numIdEPKPKS1_PKPS1_Ev13rocblas_fill_17rocblas_diagonal_iT1_lillT2_lilli
    .private_segment_fixed_size: 0
    .sgpr_count:     36
    .sgpr_spill_count: 0
    .symbol:         _ZL30rocblas_trtri_remainder_kernelILi16E19rocblas_complex_numIdEPKPKS1_PKPS1_Ev13rocblas_fill_17rocblas_diagonal_iT1_lillT2_lilli.kd
    .uniform_work_group_size: 1
    .uses_dynamic_stack: false
    .vgpr_count:     20
    .vgpr_spill_count: 0
    .wavefront_size: 64
amdhsa.target:   amdgcn-amd-amdhsa--gfx950
amdhsa.version:
  - 1
  - 2
...

	.end_amdgpu_metadata
